;; amdgpu-corpus repo=ROCm/rocFFT kind=compiled arch=gfx1030 opt=O3
	.text
	.amdgcn_target "amdgcn-amd-amdhsa--gfx1030"
	.amdhsa_code_object_version 6
	.protected	fft_rtc_fwd_len1200_factors_5_5_16_3_wgs_225_tpt_75_halfLds_dp_ip_CI_unitstride_sbrr_dirReg ; -- Begin function fft_rtc_fwd_len1200_factors_5_5_16_3_wgs_225_tpt_75_halfLds_dp_ip_CI_unitstride_sbrr_dirReg
	.globl	fft_rtc_fwd_len1200_factors_5_5_16_3_wgs_225_tpt_75_halfLds_dp_ip_CI_unitstride_sbrr_dirReg
	.p2align	8
	.type	fft_rtc_fwd_len1200_factors_5_5_16_3_wgs_225_tpt_75_halfLds_dp_ip_CI_unitstride_sbrr_dirReg,@function
fft_rtc_fwd_len1200_factors_5_5_16_3_wgs_225_tpt_75_halfLds_dp_ip_CI_unitstride_sbrr_dirReg: ; @fft_rtc_fwd_len1200_factors_5_5_16_3_wgs_225_tpt_75_halfLds_dp_ip_CI_unitstride_sbrr_dirReg
; %bb.0:
	s_load_dwordx4 s[8:11], s[4:5], 0x0
	v_mul_u32_u24_e32 v1, 0x36a, v0
	s_clause 0x1
	s_load_dwordx2 s[2:3], s[4:5], 0x50
	s_load_dwordx2 s[12:13], s[4:5], 0x18
	v_mov_b32_e32 v3, 0
	v_mov_b32_e32 v5, 0
	;; [unrolled: 1-line block ×3, first 2 shown]
	v_lshrrev_b32_e32 v1, 16, v1
	v_mad_u64_u32 v[1:2], null, s6, 3, v[1:2]
	v_mov_b32_e32 v2, v3
	v_mov_b32_e32 v10, v2
	;; [unrolled: 1-line block ×3, first 2 shown]
	s_waitcnt lgkmcnt(0)
	v_cmp_lt_u64_e64 s0, s[10:11], 2
	s_and_b32 vcc_lo, exec_lo, s0
	s_cbranch_vccnz .LBB0_8
; %bb.1:
	s_load_dwordx2 s[0:1], s[4:5], 0x10
	v_mov_b32_e32 v5, 0
	v_mov_b32_e32 v8, v2
	s_add_u32 s6, s12, 8
	v_mov_b32_e32 v6, 0
	v_mov_b32_e32 v7, v1
	s_addc_u32 s7, s13, 0
	s_mov_b64 s[16:17], 1
	s_waitcnt lgkmcnt(0)
	s_add_u32 s14, s0, 8
	s_addc_u32 s15, s1, 0
.LBB0_2:                                ; =>This Inner Loop Header: Depth=1
	s_load_dwordx2 s[18:19], s[14:15], 0x0
                                        ; implicit-def: $vgpr9_vgpr10
	s_mov_b32 s0, exec_lo
	s_waitcnt lgkmcnt(0)
	v_or_b32_e32 v4, s19, v8
	v_cmpx_ne_u64_e32 0, v[3:4]
	s_xor_b32 s1, exec_lo, s0
	s_cbranch_execz .LBB0_4
; %bb.3:                                ;   in Loop: Header=BB0_2 Depth=1
	v_cvt_f32_u32_e32 v2, s18
	v_cvt_f32_u32_e32 v4, s19
	s_sub_u32 s0, 0, s18
	s_subb_u32 s20, 0, s19
	v_fmac_f32_e32 v2, 0x4f800000, v4
	v_rcp_f32_e32 v2, v2
	v_mul_f32_e32 v2, 0x5f7ffffc, v2
	v_mul_f32_e32 v4, 0x2f800000, v2
	v_trunc_f32_e32 v4, v4
	v_fmac_f32_e32 v2, 0xcf800000, v4
	v_cvt_u32_f32_e32 v4, v4
	v_cvt_u32_f32_e32 v2, v2
	v_mul_lo_u32 v9, s0, v4
	v_mul_hi_u32 v10, s0, v2
	v_mul_lo_u32 v11, s20, v2
	v_add_nc_u32_e32 v9, v10, v9
	v_mul_lo_u32 v10, s0, v2
	v_add_nc_u32_e32 v9, v9, v11
	v_mul_hi_u32 v11, v2, v10
	v_mul_lo_u32 v12, v2, v9
	v_mul_hi_u32 v13, v2, v9
	v_mul_hi_u32 v14, v4, v10
	v_mul_lo_u32 v10, v4, v10
	v_mul_hi_u32 v15, v4, v9
	v_mul_lo_u32 v9, v4, v9
	v_add_co_u32 v11, vcc_lo, v11, v12
	v_add_co_ci_u32_e32 v12, vcc_lo, 0, v13, vcc_lo
	v_add_co_u32 v10, vcc_lo, v11, v10
	v_add_co_ci_u32_e32 v10, vcc_lo, v12, v14, vcc_lo
	v_add_co_ci_u32_e32 v11, vcc_lo, 0, v15, vcc_lo
	v_add_co_u32 v9, vcc_lo, v10, v9
	v_add_co_ci_u32_e32 v10, vcc_lo, 0, v11, vcc_lo
	v_add_co_u32 v2, vcc_lo, v2, v9
	v_add_co_ci_u32_e32 v4, vcc_lo, v4, v10, vcc_lo
	v_mul_hi_u32 v9, s0, v2
	v_mul_lo_u32 v11, s20, v2
	v_mul_lo_u32 v10, s0, v4
	v_add_nc_u32_e32 v9, v9, v10
	v_mul_lo_u32 v10, s0, v2
	v_add_nc_u32_e32 v9, v9, v11
	v_mul_hi_u32 v11, v2, v10
	v_mul_lo_u32 v12, v2, v9
	v_mul_hi_u32 v13, v2, v9
	v_mul_hi_u32 v14, v4, v10
	v_mul_lo_u32 v10, v4, v10
	v_mul_hi_u32 v15, v4, v9
	v_mul_lo_u32 v9, v4, v9
	v_add_co_u32 v11, vcc_lo, v11, v12
	v_add_co_ci_u32_e32 v12, vcc_lo, 0, v13, vcc_lo
	v_add_co_u32 v10, vcc_lo, v11, v10
	v_add_co_ci_u32_e32 v10, vcc_lo, v12, v14, vcc_lo
	v_add_co_ci_u32_e32 v11, vcc_lo, 0, v15, vcc_lo
	v_add_co_u32 v9, vcc_lo, v10, v9
	v_add_co_ci_u32_e32 v10, vcc_lo, 0, v11, vcc_lo
	v_add_co_u32 v2, vcc_lo, v2, v9
	v_add_co_ci_u32_e32 v4, vcc_lo, v4, v10, vcc_lo
	v_mul_hi_u32 v15, v7, v2
	v_mad_u64_u32 v[11:12], null, v8, v2, 0
	v_mad_u64_u32 v[9:10], null, v7, v4, 0
	v_mad_u64_u32 v[13:14], null, v8, v4, 0
	v_add_co_u32 v2, vcc_lo, v15, v9
	v_add_co_ci_u32_e32 v4, vcc_lo, 0, v10, vcc_lo
	v_add_co_u32 v2, vcc_lo, v2, v11
	v_add_co_ci_u32_e32 v2, vcc_lo, v4, v12, vcc_lo
	v_add_co_ci_u32_e32 v4, vcc_lo, 0, v14, vcc_lo
	v_add_co_u32 v2, vcc_lo, v2, v13
	v_add_co_ci_u32_e32 v4, vcc_lo, 0, v4, vcc_lo
	v_mul_lo_u32 v11, s19, v2
	v_mad_u64_u32 v[9:10], null, s18, v2, 0
	v_mul_lo_u32 v12, s18, v4
	v_sub_co_u32 v9, vcc_lo, v7, v9
	v_add3_u32 v10, v10, v12, v11
	v_sub_nc_u32_e32 v11, v8, v10
	v_subrev_co_ci_u32_e64 v11, s0, s19, v11, vcc_lo
	v_add_co_u32 v12, s0, v2, 2
	v_add_co_ci_u32_e64 v13, s0, 0, v4, s0
	v_sub_co_u32 v14, s0, v9, s18
	v_sub_co_ci_u32_e32 v10, vcc_lo, v8, v10, vcc_lo
	v_subrev_co_ci_u32_e64 v11, s0, 0, v11, s0
	v_cmp_le_u32_e32 vcc_lo, s18, v14
	v_cmp_eq_u32_e64 s0, s19, v10
	v_cndmask_b32_e64 v14, 0, -1, vcc_lo
	v_cmp_le_u32_e32 vcc_lo, s19, v11
	v_cndmask_b32_e64 v15, 0, -1, vcc_lo
	v_cmp_le_u32_e32 vcc_lo, s18, v9
	;; [unrolled: 2-line block ×3, first 2 shown]
	v_cndmask_b32_e64 v16, 0, -1, vcc_lo
	v_cmp_eq_u32_e32 vcc_lo, s19, v11
	v_cndmask_b32_e64 v9, v16, v9, s0
	v_cndmask_b32_e32 v11, v15, v14, vcc_lo
	v_add_co_u32 v14, vcc_lo, v2, 1
	v_add_co_ci_u32_e32 v15, vcc_lo, 0, v4, vcc_lo
	v_cmp_ne_u32_e32 vcc_lo, 0, v11
	v_cndmask_b32_e32 v10, v15, v13, vcc_lo
	v_cndmask_b32_e32 v11, v14, v12, vcc_lo
	v_cmp_ne_u32_e32 vcc_lo, 0, v9
	v_cndmask_b32_e32 v10, v4, v10, vcc_lo
	v_cndmask_b32_e32 v9, v2, v11, vcc_lo
.LBB0_4:                                ;   in Loop: Header=BB0_2 Depth=1
	s_andn2_saveexec_b32 s0, s1
	s_cbranch_execz .LBB0_6
; %bb.5:                                ;   in Loop: Header=BB0_2 Depth=1
	v_cvt_f32_u32_e32 v2, s18
	s_sub_i32 s1, 0, s18
	v_rcp_iflag_f32_e32 v2, v2
	v_mul_f32_e32 v2, 0x4f7ffffe, v2
	v_cvt_u32_f32_e32 v2, v2
	v_mul_lo_u32 v4, s1, v2
	v_mul_hi_u32 v4, v2, v4
	v_add_nc_u32_e32 v2, v2, v4
	v_mul_hi_u32 v2, v7, v2
	v_mul_lo_u32 v4, v2, s18
	v_add_nc_u32_e32 v9, 1, v2
	v_sub_nc_u32_e32 v4, v7, v4
	v_subrev_nc_u32_e32 v10, s18, v4
	v_cmp_le_u32_e32 vcc_lo, s18, v4
	v_cndmask_b32_e32 v4, v4, v10, vcc_lo
	v_cndmask_b32_e32 v2, v2, v9, vcc_lo
	v_mov_b32_e32 v10, v3
	v_cmp_le_u32_e32 vcc_lo, s18, v4
	v_add_nc_u32_e32 v9, 1, v2
	v_cndmask_b32_e32 v9, v2, v9, vcc_lo
.LBB0_6:                                ;   in Loop: Header=BB0_2 Depth=1
	s_or_b32 exec_lo, exec_lo, s0
	s_load_dwordx2 s[0:1], s[6:7], 0x0
	v_mul_lo_u32 v2, v10, s18
	v_mul_lo_u32 v4, v9, s19
	v_mad_u64_u32 v[11:12], null, v9, s18, 0
	s_add_u32 s16, s16, 1
	s_addc_u32 s17, s17, 0
	s_add_u32 s6, s6, 8
	s_addc_u32 s7, s7, 0
	;; [unrolled: 2-line block ×3, first 2 shown]
	v_add3_u32 v2, v12, v4, v2
	v_sub_co_u32 v4, vcc_lo, v7, v11
	v_sub_co_ci_u32_e32 v2, vcc_lo, v8, v2, vcc_lo
	s_waitcnt lgkmcnt(0)
	v_mul_lo_u32 v7, s1, v4
	v_mul_lo_u32 v2, s0, v2
	v_mad_u64_u32 v[5:6], null, s0, v4, v[5:6]
	v_cmp_ge_u64_e64 s0, s[16:17], s[10:11]
	s_and_b32 vcc_lo, exec_lo, s0
	v_add3_u32 v6, v7, v6, v2
	s_cbranch_vccnz .LBB0_8
; %bb.7:                                ;   in Loop: Header=BB0_2 Depth=1
	v_mov_b32_e32 v7, v9
	v_mov_b32_e32 v8, v10
	s_branch .LBB0_2
.LBB0_8:
	s_lshl_b64 s[0:1], s[10:11], 3
                                        ; implicit-def: $vgpr92_vgpr93
                                        ; implicit-def: $vgpr56_vgpr57
                                        ; implicit-def: $vgpr22_vgpr23
                                        ; implicit-def: $vgpr38_vgpr39
                                        ; implicit-def: $vgpr18_vgpr19
                                        ; implicit-def: $vgpr64_vgpr65
                                        ; implicit-def: $vgpr68_vgpr69
                                        ; implicit-def: $vgpr42_vgpr43
                                        ; implicit-def: $vgpr34_vgpr35
                                        ; implicit-def: $vgpr26_vgpr27
                                        ; implicit-def: $vgpr60_vgpr61
                                        ; implicit-def: $vgpr76_vgpr77
                                        ; implicit-def: $vgpr84_vgpr85
                                        ; implicit-def: $vgpr80_vgpr81
                                        ; implicit-def: $vgpr88_vgpr89
                                        ; implicit-def: $vgpr30_vgpr31
                                        ; implicit-def: $vgpr72_vgpr73
                                        ; implicit-def: $vgpr52_vgpr53
	s_add_u32 s0, s12, s0
	s_addc_u32 s1, s13, s1
	s_load_dwordx2 s[0:1], s[0:1], 0x0
	s_load_dwordx2 s[4:5], s[4:5], 0x20
	s_waitcnt lgkmcnt(0)
	v_mul_lo_u32 v4, s0, v10
	v_mul_lo_u32 v7, s1, v9
	v_mad_u64_u32 v[2:3], null, s0, v9, v[5:6]
	v_mul_hi_u32 v5, 0x369d037, v0
	v_cmp_gt_u64_e32 vcc_lo, s[4:5], v[9:10]
                                        ; implicit-def: $vgpr10_vgpr11
	v_add3_u32 v3, v7, v3, v4
                                        ; implicit-def: $vgpr6_vgpr7
	v_mul_u32_u24_e32 v4, 0x4b, v5
	v_lshlrev_b64 v[116:117], 4, v[2:3]
	v_sub_nc_u32_e32 v114, v0, v4
	s_and_saveexec_b32 s1, vcc_lo
	s_cbranch_execz .LBB0_12
; %bb.9:
	v_mov_b32_e32 v115, 0
	v_add_co_u32 v0, s0, s2, v116
	v_add_co_ci_u32_e64 v4, s0, s3, v117, s0
	v_lshlrev_b64 v[2:3], 4, v[114:115]
	s_mov_b32 s4, exec_lo
                                        ; implicit-def: $vgpr86_vgpr87
                                        ; implicit-def: $vgpr78_vgpr79
                                        ; implicit-def: $vgpr82_vgpr83
                                        ; implicit-def: $vgpr74_vgpr75
                                        ; implicit-def: $vgpr58_vgpr59
	v_add_co_u32 v2, s0, v0, v2
	v_add_co_ci_u32_e64 v3, s0, v4, v3, s0
	v_add_co_u32 v12, s0, 0x800, v2
	v_add_co_ci_u32_e64 v13, s0, 0, v3, s0
	;; [unrolled: 2-line block ×9, first 2 shown]
	s_clause 0xe
	global_load_dwordx4 v[8:11], v[14:15], off offset:1280
	global_load_dwordx4 v[4:7], v[44:45], off offset:1024
	global_load_dwordx4 v[50:53], v[2:3], off
	global_load_dwordx4 v[20:23], v[2:3], off offset:1200
	global_load_dwordx4 v[70:73], v[16:17], off offset:944
	;; [unrolled: 1-line block ×12, first 2 shown]
	v_cmpx_gt_u32_e32 15, v114
; %bb.10:
	v_add_co_u32 v2, s0, 0x4800, v2
	v_add_co_ci_u32_e64 v3, s0, 0, v3, s0
	s_clause 0x4
	global_load_dwordx4 v[86:89], v[12:13], off offset:1552
	global_load_dwordx4 v[78:81], v[46:47], off offset:1296
	global_load_dwordx4 v[82:85], v[14:15], off offset:1040
	global_load_dwordx4 v[74:77], v[44:45], off offset:784
	global_load_dwordx4 v[58:61], v[2:3], off offset:528
; %bb.11:
	s_or_b32 exec_lo, exec_lo, s4
.LBB0_12:
	s_or_b32 exec_lo, exec_lo, s1
	s_waitcnt vmcnt(6)
	v_add_f64 v[2:3], v[28:29], v[70:71]
	s_waitcnt vmcnt(0)
	v_add_f64 v[12:13], v[58:59], v[78:79]
	v_add_f64 v[14:15], v[90:91], v[4:5]
	v_add_f64 v[44:45], v[38:39], -v[18:19]
	v_add_f64 v[46:47], v[36:37], -v[70:71]
	;; [unrolled: 1-line block ×4, first 2 shown]
	v_add_f64 v[102:103], v[54:55], v[8:9]
	v_add_f64 v[106:107], v[56:57], -v[10:11]
	v_add_f64 v[118:119], v[36:37], v[16:17]
	v_add_f64 v[126:127], v[40:41], v[32:33]
	v_add_f64 v[132:133], v[66:67], v[24:25]
	v_add_f64 v[138:139], v[74:75], v[82:83]
	v_mul_hi_u32 v0, 0xaaaaaaab, v1
	s_mov_b32 s6, 0x134454ff
	s_mov_b32 s7, 0x3fee6f0e
	;; [unrolled: 1-line block ×4, first 2 shown]
	v_add_f64 v[94:95], v[72:73], -v[30:31]
	v_add_f64 v[96:97], v[82:83], -v[78:79]
	;; [unrolled: 1-line block ×3, first 2 shown]
	v_lshrrev_b32_e32 v0, 1, v0
	v_fma_f64 v[2:3], v[2:3], -0.5, v[20:21]
	v_fma_f64 v[12:13], v[12:13], -0.5, v[86:87]
	;; [unrolled: 1-line block ×3, first 2 shown]
	v_add_f64 v[104:105], v[80:81], -v[60:61]
	v_lshl_add_u32 v0, v0, 1, v0
	v_add_f64 v[108:109], v[90:91], -v[54:55]
	v_add_f64 v[110:111], v[4:5], -v[8:9]
	v_add_f64 v[112:113], v[90:91], v[50:51]
	v_add_f64 v[120:121], v[92:93], -v[6:7]
	v_add_f64 v[122:123], v[54:55], -v[90:91]
	;; [unrolled: 1-line block ×5, first 2 shown]
	v_add_f64 v[134:135], v[20:21], v[70:71]
	v_add_f64 v[136:137], v[62:63], v[66:67]
	v_fma_f64 v[50:51], v[102:103], -0.5, v[50:51]
	v_add_f64 v[144:145], v[68:69], -v[26:27]
	v_fma_f64 v[20:21], v[118:119], -0.5, v[20:21]
	v_add_f64 v[118:119], v[42:43], -v[34:35]
	v_add_f64 v[146:147], v[78:79], v[86:87]
	v_fma_f64 v[126:127], v[126:127], -0.5, v[62:63]
	v_sub_nc_u32_e32 v115, v1, v0
	v_fma_f64 v[102:103], v[44:45], s[10:11], v[2:3]
	v_fma_f64 v[2:3], v[44:45], s[6:7], v[2:3]
	v_fma_f64 v[140:141], v[100:101], s[10:11], v[12:13]
	v_fma_f64 v[12:13], v[100:101], s[6:7], v[12:13]
	v_fma_f64 v[142:143], v[106:107], s[10:11], v[14:15]
	v_fma_f64 v[14:15], v[106:107], s[6:7], v[14:15]
	v_add_f64 v[0:1], v[48:49], v[46:47]
	v_fma_f64 v[46:47], v[132:133], -0.5, v[62:63]
	v_fma_f64 v[86:87], v[138:139], -0.5, v[86:87]
	s_mov_b32 s0, 0x4755a5e
	s_mov_b32 s1, 0x3fe2cf23
	;; [unrolled: 1-line block ×4, first 2 shown]
	v_add_f64 v[48:49], v[98:99], v[96:97]
	v_add_f64 v[62:63], v[108:109], v[110:111]
	;; [unrolled: 1-line block ×4, first 2 shown]
	v_fma_f64 v[108:109], v[120:121], s[6:7], v[50:51]
	v_add_f64 v[124:125], v[130:131], v[128:129]
	v_add_f64 v[128:129], v[36:37], v[134:135]
	v_fma_f64 v[130:131], v[94:95], s[6:7], v[20:21]
	v_add_f64 v[132:133], v[66:67], -v[40:41]
	v_fma_f64 v[102:103], v[94:95], s[0:1], v[102:103]
	v_fma_f64 v[2:3], v[94:95], s[4:5], v[2:3]
	v_fma_f64 v[110:111], v[104:105], s[0:1], v[140:141]
	v_fma_f64 v[112:113], v[104:105], s[4:5], v[12:13]
	v_fma_f64 v[122:123], v[120:121], s[0:1], v[142:143]
	v_fma_f64 v[13:14], v[120:121], s[4:5], v[14:15]
	v_add_f64 v[134:135], v[24:25], -v[32:33]
	v_add_f64 v[136:137], v[136:137], v[40:41]
	v_fma_f64 v[138:139], v[144:145], s[6:7], v[126:127]
	v_add_f64 v[140:141], v[40:41], -v[66:67]
	v_add_f64 v[142:143], v[32:33], -v[24:25]
	v_fma_f64 v[148:149], v[118:119], s[10:11], v[46:47]
	v_fma_f64 v[46:47], v[118:119], s[6:7], v[46:47]
	;; [unrolled: 1-line block ×7, first 2 shown]
	v_add_f64 v[104:105], v[78:79], -v[82:83]
	v_add_f64 v[126:127], v[58:59], -v[74:75]
	v_add_f64 v[146:147], v[82:83], v[146:147]
	v_add_f64 v[96:97], v[8:9], v[96:97]
	v_fma_f64 v[108:109], v[106:107], s[0:1], v[108:109]
	v_add_f64 v[128:129], v[16:17], v[128:129]
	v_fma_f64 v[130:131], v[44:45], s[0:1], v[130:131]
	s_mov_b32 s6, 0x372fe950
	s_mov_b32 s7, 0x3fd3c6ef
	v_mul_u32_u24_e32 v12, 0x4b0, v115
	v_add_f64 v[132:133], v[132:133], v[134:135]
	v_add_f64 v[134:135], v[136:137], v[32:33]
	v_fma_f64 v[136:137], v[118:119], s[0:1], v[138:139]
	v_fma_f64 v[110:111], v[48:49], s[6:7], v[110:111]
	v_add_f64 v[138:139], v[140:141], v[142:143]
	v_fma_f64 v[140:141], v[144:145], s[0:1], v[148:149]
	v_fma_f64 v[46:47], v[144:145], s[4:5], v[46:47]
	;; [unrolled: 1-line block ×8, first 2 shown]
	v_add_f64 v[94:95], v[126:127], v[104:105]
	v_add_f64 v[104:105], v[74:75], v[146:147]
	v_fma_f64 v[102:103], v[0:1], s[6:7], v[2:3]
	v_fma_f64 v[112:113], v[48:49], s[6:7], v[112:113]
	v_add_f64 v[48:49], v[4:5], v[96:97]
	v_fma_f64 v[96:97], v[62:63], s[6:7], v[108:109]
	v_fma_f64 v[108:109], v[98:99], s[6:7], v[122:123]
	;; [unrolled: 1-line block ×3, first 2 shown]
	v_add_f64 v[98:99], v[28:29], v[128:129]
	v_fma_f64 v[118:119], v[124:125], s[6:7], v[130:131]
	v_add_f64 v[122:123], v[134:135], v[24:25]
	v_fma_f64 v[126:127], v[132:133], s[6:7], v[136:137]
	v_mad_u32_u24 v115, v114, 40, 0
	v_lshlrev_b32_e32 v120, 3, v12
	v_fma_f64 v[128:129], v[138:139], s[6:7], v[140:141]
	v_fma_f64 v[46:47], v[138:139], s[6:7], v[46:47]
	;; [unrolled: 1-line block ×5, first 2 shown]
	v_add_nc_u32_e32 v121, v115, v120
	v_add_nc_u32_e32 v13, 0x1770, v115
	v_cmp_gt_u32_e64 s0, 15, v114
	v_fma_f64 v[2:3], v[94:95], s[6:7], v[106:107]
	v_add_f64 v[0:1], v[58:59], v[104:105]
	v_fma_f64 v[86:87], v[94:95], s[6:7], v[86:87]
	v_add_nc_u32_e32 v94, 0xbc8, v121
	v_add_nc_u32_e32 v21, 0xbb8, v121
	;; [unrolled: 1-line block ×3, first 2 shown]
	ds_write2_b64 v94, v[100:101], v[102:103] offset1:1
	ds_write2_b64 v121, v[48:49], v[96:97] offset1:1
	ds_write2_b64 v121, v[108:109], v[14:15] offset0:2 offset1:3
	ds_write2_b64 v21, v[98:99], v[118:119] offset1:1
	ds_write2_b64 v20, v[122:123], v[126:127] offset1:1
	ds_write2_b64 v20, v[128:129], v[46:47] offset0:2 offset1:3
	ds_write_b64 v121, v[50:51] offset:32
	ds_write_b64 v121, v[62:63] offset:3032
	;; [unrolled: 1-line block ×3, first 2 shown]
	s_and_saveexec_b32 s1, s0
	s_cbranch_execz .LBB0_14
; %bb.13:
	v_lshl_add_u32 v12, v12, 3, v13
	v_add_nc_u32_e32 v13, 0xbb8, v12
	v_add_nc_u32_e32 v14, 0xbc8, v12
	ds_write2_b64 v13, v[0:1], v[2:3] offset1:1
	ds_write2_b64 v14, v[110:111], v[112:113] offset1:1
	ds_write_b64 v12, v[86:87] offset:3032
.LBB0_14:
	s_or_b32 exec_lo, exec_lo, s1
	v_lshlrev_b32_e32 v12, 3, v114
	s_waitcnt lgkmcnt(0)
	s_barrier
	buffer_gl0_inv
	v_add3_u32 v115, 0, v12, v120
	v_add3_u32 v119, 0, v120, v12
	v_add_nc_u32_e32 v12, 0x400, v115
	v_add_nc_u32_e32 v13, 0x800, v115
	;; [unrolled: 1-line block ×6, first 2 shown]
	ds_read_b64 v[62:63], v119
	ds_read2_b64 v[106:109], v12 offset0:112 offset1:187
	ds_read2_b64 v[98:101], v13 offset0:134 offset1:224
	;; [unrolled: 1-line block ×7, first 2 shown]
	s_and_saveexec_b32 s1, s0
	s_cbranch_execz .LBB0_16
; %bb.15:
	v_add_nc_u32_e32 v0, 0x700, v115
	v_add_nc_u32_e32 v86, 0x1600, v115
	ds_read2_b64 v[0:3], v0 offset0:1 offset1:241
	ds_read2_b64 v[110:113], v86 offset0:1 offset1:241
	ds_read_b64 v[86:87], v115 offset:9480
.LBB0_16:
	s_or_b32 exec_lo, exec_lo, s1
	v_add_f64 v[122:123], v[56:57], v[10:11]
	v_add_f64 v[124:125], v[92:93], v[6:7]
	;; [unrolled: 1-line block ×3, first 2 shown]
	v_add_f64 v[4:5], v[90:91], -v[4:5]
	v_add_f64 v[8:9], v[54:55], -v[8:9]
	v_add_f64 v[128:129], v[38:39], v[18:19]
	v_add_f64 v[130:131], v[30:31], v[72:73]
	;; [unrolled: 1-line block ×5, first 2 shown]
	s_mov_b32 s10, 0x134454ff
	s_mov_b32 s11, 0xbfee6f0e
	;; [unrolled: 1-line block ×4, first 2 shown]
	v_add_f64 v[54:55], v[92:93], -v[56:57]
	v_add_f64 v[90:91], v[6:7], -v[10:11]
	;; [unrolled: 1-line block ×4, first 2 shown]
	v_add_f64 v[136:137], v[22:23], v[72:73]
	v_add_f64 v[28:29], v[70:71], -v[28:29]
	v_add_f64 v[16:17], v[36:37], -v[16:17]
	v_add_f64 v[142:143], v[64:65], v[68:69]
	v_fma_f64 v[122:123], v[122:123], -0.5, v[52:53]
	v_fma_f64 v[52:53], v[124:125], -0.5, v[52:53]
	v_add_f64 v[124:125], v[76:77], v[84:85]
	v_add_f64 v[24:25], v[66:67], -v[24:25]
	v_add_f64 v[32:33], v[40:41], -v[32:33]
	v_add_f64 v[40:41], v[56:57], v[126:127]
	v_fma_f64 v[66:67], v[128:129], -0.5, v[22:23]
	v_fma_f64 v[22:23], v[130:131], -0.5, v[22:23]
	;; [unrolled: 1-line block ×4, first 2 shown]
	v_add_f64 v[138:139], v[80:81], v[88:89]
	v_add_f64 v[58:59], v[78:79], -v[58:59]
	v_add_f64 v[74:75], v[82:83], -v[74:75]
	s_mov_b32 s4, 0x4755a5e
	s_mov_b32 s5, 0xbfe2cf23
	;; [unrolled: 1-line block ×4, first 2 shown]
	v_add_f64 v[36:37], v[72:73], -v[38:39]
	v_add_f64 v[70:71], v[30:31], -v[18:19]
	;; [unrolled: 1-line block ×5, first 2 shown]
	v_fma_f64 v[130:131], v[4:5], s[10:11], v[122:123]
	v_fma_f64 v[122:123], v[4:5], s[12:13], v[122:123]
	;; [unrolled: 1-line block ×3, first 2 shown]
	v_fma_f64 v[78:79], v[124:125], -0.5, v[88:89]
	v_fma_f64 v[88:89], v[144:145], -0.5, v[88:89]
	v_add_f64 v[126:127], v[26:27], -v[34:35]
	v_add_f64 v[68:69], v[42:43], -v[68:69]
	v_add_f64 v[54:55], v[54:55], v[90:91]
	v_add_f64 v[82:83], v[92:93], v[132:133]
	;; [unrolled: 1-line block ×5, first 2 shown]
	v_fma_f64 v[40:41], v[8:9], s[10:11], v[52:53]
	v_fma_f64 v[52:53], v[28:29], s[10:11], v[66:67]
	;; [unrolled: 1-line block ×8, first 2 shown]
	v_add_f64 v[132:133], v[34:35], -v[26:27]
	v_fma_f64 v[64:65], v[32:33], s[10:11], v[64:65]
	v_fma_f64 v[130:131], v[8:9], s[4:5], v[130:131]
	;; [unrolled: 1-line block ×4, first 2 shown]
	v_add_f64 v[134:135], v[84:85], v[138:139]
	v_fma_f64 v[136:137], v[58:59], s[10:11], v[78:79]
	v_add_f64 v[138:139], v[80:81], -v[84:85]
	v_add_f64 v[142:143], v[60:61], -v[76:77]
	v_fma_f64 v[78:79], v[58:59], s[12:13], v[78:79]
	v_fma_f64 v[144:145], v[74:75], s[12:13], v[88:89]
	v_add_f64 v[80:81], v[84:85], -v[80:81]
	v_add_f64 v[84:85], v[76:77], -v[60:61]
	v_fma_f64 v[88:89], v[74:75], s[10:11], v[88:89]
	v_fma_f64 v[4:5], v[4:5], s[6:7], v[40:41]
	v_add_f64 v[18:19], v[18:19], v[38:39]
	v_fma_f64 v[38:39], v[16:17], s[4:5], v[52:53]
	v_add_f64 v[36:37], v[70:71], v[36:37]
	v_fma_f64 v[16:17], v[16:17], s[6:7], v[66:67]
	v_fma_f64 v[40:41], v[28:29], s[4:5], v[90:91]
	v_add_f64 v[52:53], v[140:141], v[72:73]
	v_fma_f64 v[22:23], v[28:29], s[6:7], v[22:23]
	v_add_f64 v[28:29], v[42:43], v[34:35]
	v_fma_f64 v[34:35], v[32:33], s[4:5], v[92:93]
	v_add_f64 v[42:43], v[56:57], v[126:127]
	v_fma_f64 v[32:33], v[32:33], s[6:7], v[124:125]
	v_fma_f64 v[56:57], v[24:25], s[4:5], v[128:129]
	v_add_f64 v[66:67], v[68:69], v[132:133]
	;; [unrolled: 7-line block ×3, first 2 shown]
	v_fma_f64 v[58:59], v[58:59], s[6:7], v[88:89]
	s_mov_b32 s4, 0x372fe950
	s_mov_b32 s5, 0x3fd3c6ef
	v_add_f64 v[10:11], v[6:7], v[10:11]
	v_fma_f64 v[78:79], v[54:55], s[4:5], v[130:131]
	v_fma_f64 v[8:9], v[54:55], s[4:5], v[8:9]
	;; [unrolled: 1-line block ×4, first 2 shown]
	v_add_f64 v[18:19], v[30:31], v[18:19]
	v_fma_f64 v[30:31], v[36:37], s[4:5], v[38:39]
	v_fma_f64 v[16:17], v[36:37], s[4:5], v[16:17]
	v_fma_f64 v[36:37], v[52:53], s[4:5], v[40:41]
	v_add_f64 v[26:27], v[28:29], v[26:27]
	v_fma_f64 v[28:29], v[42:43], s[4:5], v[34:35]
	v_fma_f64 v[32:33], v[42:43], s[4:5], v[32:33]
	v_fma_f64 v[22:23], v[52:53], s[4:5], v[22:23]
	;; [unrolled: 4-line block ×3, first 2 shown]
	v_fma_f64 v[24:25], v[66:67], s[4:5], v[24:25]
	v_fma_f64 v[40:41], v[76:77], s[4:5], v[74:75]
	v_fma_f64 v[42:43], v[76:77], s[4:5], v[58:59]
	v_add_nc_u32_e32 v118, 0xe1, v114
	s_waitcnt lgkmcnt(0)
	s_barrier
	buffer_gl0_inv
	ds_write2_b64 v121, v[10:11], v[78:79] offset1:1
	ds_write2_b64 v121, v[80:81], v[82:83] offset0:2 offset1:3
	ds_write_b64 v121, v[8:9] offset:32
	ds_write2_b64 v21, v[18:19], v[30:31] offset1:1
	ds_write2_b64 v21, v[36:37], v[22:23] offset0:2 offset1:3
	ds_write_b64 v21, v[16:17] offset:32
	;; [unrolled: 3-line block ×3, first 2 shown]
	s_and_saveexec_b32 s1, s0
	s_cbranch_execz .LBB0_18
; %bb.17:
	v_mul_u32_u24_e32 v8, 40, v118
	v_add3_u32 v8, 0, v8, v120
	ds_write2_b64 v8, v[4:5], v[6:7] offset1:1
	ds_write2_b64 v8, v[40:41], v[42:43] offset0:2 offset1:3
	ds_write_b64 v8, v[54:55] offset:32
.LBB0_18:
	s_or_b32 exec_lo, exec_lo, s1
	v_add_nc_u32_e32 v8, 0x400, v115
	s_waitcnt lgkmcnt(0)
	s_barrier
	buffer_gl0_inv
	v_add_nc_u32_e32 v9, 0x800, v115
	ds_read_b64 v[52:53], v119
	ds_read2_b64 v[16:19], v8 offset0:112 offset1:187
	v_add_nc_u32_e32 v8, 0x1400, v115
	v_add_nc_u32_e32 v10, 0x1800, v115
	;; [unrolled: 1-line block ×4, first 2 shown]
	ds_read2_b64 v[20:23], v9 offset0:134 offset1:224
	ds_read2_b64 v[36:39], v8 offset0:80 offset1:155
	;; [unrolled: 1-line block ×6, first 2 shown]
	s_and_saveexec_b32 s1, s0
	s_cbranch_execz .LBB0_20
; %bb.19:
	v_add_nc_u32_e32 v4, 0x700, v115
	v_add_nc_u32_e32 v40, 0x1600, v115
	ds_read2_b64 v[4:7], v4 offset0:1 offset1:241
	ds_read2_b64 v[40:43], v40 offset0:1 offset1:241
	ds_read_b64 v[54:55], v115 offset:9480
.LBB0_20:
	s_or_b32 exec_lo, exec_lo, s1
	v_mov_b32_e32 v56, 0xcccd
	v_mov_b32_e32 v57, 6
	v_and_b32_e32 v90, 0xff, v114
	v_add_nc_u32_e32 v122, 0x4b, v114
	v_add_nc_u32_e32 v121, 0x96, v114
	v_mul_u32_u24_sdwa v56, v118, v56 dst_sel:DWORD dst_unused:UNUSED_PAD src0_sel:WORD_0 src1_sel:DWORD
	s_mov_b32 s4, 0x134454ff
	v_mul_lo_u16 v64, 0xcd, v90
	s_mov_b32 s5, 0x3fee6f0e
	v_and_b32_e32 v66, 0xff, v121
	v_lshrrev_b32_e32 v56, 18, v56
	s_mov_b32 s7, 0xbfee6f0e
	v_lshrrev_b16 v65, 10, v64
	s_mov_b32 s6, s4
	v_mul_lo_u16 v66, 0xcd, v66
	v_mul_lo_u16 v56, v56, 5
	s_mov_b32 s10, 0x4755a5e
	v_mul_lo_u16 v64, v65, 5
	s_mov_b32 s11, 0x3fe2cf23
	v_lshrrev_b16 v66, 10, v66
	v_sub_nc_u16 v91, v118, v56
	s_mov_b32 s15, 0xbfe2cf23
	v_sub_nc_u16 v92, v114, v64
	v_and_b32_e32 v64, 0xff, v122
	s_mov_b32 s14, s10
	v_lshlrev_b32_sdwa v56, v57, v91 dst_sel:DWORD dst_unused:UNUSED_PAD src0_sel:DWORD src1_sel:WORD_0
	v_and_b32_e32 v65, 0xffff, v65
	v_lshlrev_b32_sdwa v75, v57, v92 dst_sel:DWORD dst_unused:UNUSED_PAD src0_sel:DWORD src1_sel:BYTE_0
	v_mul_lo_u16 v64, 0xcd, v64
	s_mov_b32 s12, 0x372fe950
	s_clause 0x5
	global_load_dwordx4 v[58:61], v56, s[8:9] offset:16
	global_load_dwordx4 v[67:70], v56, s[8:9] offset:32
	;; [unrolled: 1-line block ×3, first 2 shown]
	global_load_dwordx4 v[76:79], v75, s[8:9]
	global_load_dwordx4 v[80:83], v75, s[8:9] offset:16
	global_load_dwordx4 v[123:126], v75, s[8:9] offset:32
	v_lshrrev_b16 v64, 10, v64
	global_load_dwordx4 v[127:130], v75, s[8:9] offset:48
	v_mul_lo_u16 v75, v66, 5
	s_mov_b32 s13, 0x3fd3c6ef
	v_mul_lo_u16 v84, v64, 5
	v_sub_nc_u16 v168, v121, v75
	v_sub_nc_u16 v167, v122, v84
	v_lshlrev_b32_sdwa v75, v57, v167 dst_sel:DWORD dst_unused:UNUSED_PAD src0_sel:DWORD src1_sel:BYTE_0
	s_clause 0x1
	global_load_dwordx4 v[131:134], v56, s[8:9]
	global_load_dwordx4 v[135:138], v75, s[8:9]
	v_lshlrev_b32_sdwa v56, v57, v168 dst_sel:DWORD dst_unused:UNUSED_PAD src0_sel:DWORD src1_sel:BYTE_0
	s_clause 0x6
	global_load_dwordx4 v[139:142], v75, s[8:9] offset:32
	global_load_dwordx4 v[143:146], v56, s[8:9]
	global_load_dwordx4 v[147:150], v75, s[8:9] offset:16
	global_load_dwordx4 v[151:154], v56, s[8:9] offset:16
	;; [unrolled: 1-line block ×5, first 2 shown]
	s_waitcnt vmcnt(0) lgkmcnt(0)
	s_barrier
	buffer_gl0_inv
	v_mul_f64 v[56:57], v[40:41], v[60:61]
	v_mul_f64 v[60:61], v[110:111], v[60:61]
	;; [unrolled: 1-line block ×5, first 2 shown]
	v_fma_f64 v[56:57], v[110:111], v[58:59], -v[56:57]
	v_fma_f64 v[40:41], v[40:41], v[58:59], v[60:61]
	v_mul_f64 v[58:59], v[42:43], v[69:70]
	v_mul_f64 v[60:61], v[112:113], v[69:70]
	;; [unrolled: 1-line block ×5, first 2 shown]
	v_fma_f64 v[58:59], v[112:113], v[67:68], -v[58:59]
	v_fma_f64 v[42:43], v[42:43], v[67:68], v[60:61]
	v_mul_f64 v[67:68], v[16:17], v[78:79]
	v_mul_f64 v[78:79], v[106:107], v[78:79]
	v_fma_f64 v[60:61], v[86:87], v[71:72], -v[69:70]
	v_mul_f64 v[86:87], v[36:37], v[125:126]
	v_fma_f64 v[54:55], v[54:55], v[71:72], v[73:74]
	v_mul_f64 v[112:113], v[46:47], v[129:130]
	v_fma_f64 v[72:73], v[100:101], v[80:81], -v[84:85]
	v_mul_f64 v[84:85], v[38:39], v[141:142]
	v_mul_f64 v[100:101], v[108:109], v[137:138]
	v_fma_f64 v[74:75], v[106:107], v[76:77], -v[67:68]
	v_mul_f64 v[106:107], v[2:3], v[133:134]
	v_fma_f64 v[70:71], v[16:17], v[76:77], v[78:79]
	v_mul_f64 v[78:79], v[6:7], v[133:134]
	v_fma_f64 v[68:69], v[22:23], v[80:81], v[82:83]
	;; [unrolled: 2-line block ×3, first 2 shown]
	v_mul_f64 v[88:89], v[32:33], v[149:150]
	v_fma_f64 v[76:77], v[102:103], v[123:124], -v[86:87]
	v_mul_f64 v[86:87], v[20:21], v[145:146]
	v_fma_f64 v[80:81], v[46:47], v[127:128], -v[110:111]
	v_mul_f64 v[110:111], v[28:29], v[161:162]
	v_fma_f64 v[16:17], v[26:27], v[127:128], v[112:113]
	v_mul_f64 v[26:27], v[34:35], v[153:154]
	v_mul_f64 v[102:103], v[104:105], v[141:142]
	;; [unrolled: 1-line block ×4, first 2 shown]
	v_add_f64 v[127:128], v[58:59], -v[60:61]
	v_add_f64 v[129:130], v[62:63], v[74:75]
	v_fma_f64 v[36:37], v[6:7], v[131:132], v[106:107]
	v_mul_f64 v[106:107], v[24:25], v[157:158]
	v_fma_f64 v[2:3], v[2:3], v[131:132], -v[78:79]
	v_fma_f64 v[78:79], v[104:105], v[139:140], -v[84:85]
	v_mul_f64 v[104:105], v[30:31], v[165:166]
	v_fma_f64 v[46:47], v[108:109], v[135:136], -v[82:83]
	v_mul_f64 v[108:109], v[98:99], v[145:146]
	;; [unrolled: 2-line block ×4, first 2 shown]
	v_fma_f64 v[86:87], v[48:49], v[159:160], -v[110:111]
	v_fma_f64 v[26:27], v[96:97], v[151:152], -v[26:27]
	v_mul_f64 v[93:94], v[50:51], v[165:166]
	v_add_f64 v[95:96], v[68:69], -v[22:23]
	v_fma_f64 v[28:29], v[28:29], v[159:160], v[123:124]
	v_fma_f64 v[84:85], v[44:45], v[155:156], -v[106:107]
	v_fma_f64 v[44:45], v[32:33], v[147:148], v[112:113]
	v_fma_f64 v[32:33], v[38:39], v[139:140], v[102:103]
	v_fma_f64 v[48:49], v[50:51], v[163:164], -v[104:105]
	v_fma_f64 v[50:51], v[18:19], v[135:136], v[100:101]
	v_fma_f64 v[38:39], v[20:21], v[143:144], v[108:109]
	v_add_f64 v[101:102], v[74:75], v[80:81]
	v_fma_f64 v[20:21], v[24:25], v[155:156], v[88:89]
	v_add_f64 v[88:89], v[72:73], v[76:77]
	v_add_f64 v[107:108], v[56:57], v[58:59]
	;; [unrolled: 1-line block ×3, first 2 shown]
	v_fma_f64 v[34:35], v[34:35], v[151:152], v[98:99]
	v_add_f64 v[97:98], v[74:75], -v[72:73]
	v_add_f64 v[99:100], v[80:81], -v[76:77]
	v_add_f64 v[131:132], v[82:83], v[78:79]
	v_add_f64 v[133:134], v[46:47], v[86:87]
	v_fma_f64 v[18:19], v[30:31], v[163:164], v[93:94]
	v_add_f64 v[103:104], v[72:73], -v[74:75]
	v_add_f64 v[105:106], v[76:77], -v[80:81]
	;; [unrolled: 1-line block ×5, first 2 shown]
	v_add_f64 v[135:136], v[26:27], v[84:85]
	v_add_f64 v[125:126], v[56:57], -v[2:3]
	v_add_f64 v[24:25], v[36:37], -v[54:55]
	v_add_f64 v[137:138], v[6:7], v[48:49]
	v_add_f64 v[30:31], v[40:41], -v[42:43]
	v_add_f64 v[139:140], v[12:13], v[46:47]
	v_add_f64 v[141:142], v[46:47], -v[82:83]
	v_add_f64 v[143:144], v[86:87], -v[78:79]
	;; [unrolled: 1-line block ×4, first 2 shown]
	v_add_f64 v[159:160], v[14:15], v[6:7]
	v_fma_f64 v[161:162], v[88:89], -0.5, v[62:63]
	v_fma_f64 v[101:102], v[101:102], -0.5, v[62:63]
	;; [unrolled: 1-line block ×4, first 2 shown]
	v_add_f64 v[149:150], v[6:7], -v[26:27]
	v_add_f64 v[151:152], v[48:49], -v[84:85]
	;; [unrolled: 1-line block ×3, first 2 shown]
	v_add_f64 v[97:98], v[97:98], v[99:100]
	v_fma_f64 v[99:100], v[131:132], -0.5, v[12:13]
	v_add_f64 v[163:164], v[44:45], -v[32:33]
	v_fma_f64 v[123:124], v[133:134], -0.5, v[12:13]
	v_add_f64 v[153:154], v[26:27], -v[6:7]
	v_add_f64 v[155:156], v[84:85], -v[48:49]
	;; [unrolled: 1-line block ×3, first 2 shown]
	v_add_f64 v[103:104], v[103:104], v[105:106]
	v_fma_f64 v[105:106], v[135:136], -0.5, v[14:15]
	v_add_f64 v[131:132], v[34:35], -v[20:21]
	v_fma_f64 v[133:134], v[137:138], -0.5, v[14:15]
	v_add_f64 v[12:13], v[109:110], v[111:112]
	v_add_f64 v[14:15], v[125:126], v[127:128]
	;; [unrolled: 1-line block ×7, first 2 shown]
	v_fma_f64 v[139:140], v[93:94], s[4:5], v[161:162]
	v_fma_f64 v[143:144], v[95:96], s[6:7], v[101:102]
	;; [unrolled: 1-line block ×6, first 2 shown]
	v_add_f64 v[127:128], v[149:150], v[151:152]
	v_fma_f64 v[149:150], v[157:158], s[4:5], v[99:100]
	v_fma_f64 v[99:100], v[157:158], s[6:7], v[99:100]
	;; [unrolled: 1-line block ×4, first 2 shown]
	v_add_f64 v[129:130], v[153:154], v[155:156]
	v_fma_f64 v[153:154], v[107:108], s[4:5], v[105:106]
	v_fma_f64 v[105:106], v[107:108], s[6:7], v[105:106]
	v_fma_f64 v[155:156], v[131:132], s[6:7], v[133:134]
	v_fma_f64 v[133:134], v[131:132], s[4:5], v[133:134]
	v_and_b32_e32 v113, 0xffff, v64
	v_add_f64 v[109:110], v[109:110], v[76:77]
	v_add_f64 v[135:136], v[135:136], v[78:79]
	;; [unrolled: 1-line block ×3, first 2 shown]
	v_fma_f64 v[139:140], v[95:96], s[10:11], v[139:140]
	v_fma_f64 v[143:144], v[93:94], s[10:11], v[143:144]
	;; [unrolled: 1-line block ×6, first 2 shown]
	v_mad_u32_u24 v95, 0xc8, v65, 0
	v_fma_f64 v[147:148], v[163:164], s[10:11], v[149:150]
	v_fma_f64 v[99:100], v[163:164], s[14:15], v[99:100]
	;; [unrolled: 1-line block ×4, first 2 shown]
	v_mov_b32_e32 v96, 3
	v_fma_f64 v[151:152], v[131:132], s[10:11], v[153:154]
	v_fma_f64 v[105:106], v[131:132], s[14:15], v[105:106]
	v_fma_f64 v[131:132], v[107:108], s[10:11], v[155:156]
	v_fma_f64 v[107:108], v[107:108], s[14:15], v[133:134]
	v_and_b32_e32 v153, 0xffff, v66
	v_add_f64 v[109:110], v[109:110], v[80:81]
	v_add_f64 v[133:134], v[135:136], v[86:87]
	;; [unrolled: 1-line block ×3, first 2 shown]
	v_fma_f64 v[137:138], v[97:98], s[12:13], v[139:140]
	v_fma_f64 v[139:140], v[103:104], s[12:13], v[143:144]
	;; [unrolled: 1-line block ×6, first 2 shown]
	v_lshlrev_b32_sdwa v93, v96, v92 dst_sel:DWORD dst_unused:UNUSED_PAD src0_sel:DWORD src1_sel:BYTE_0
	v_fma_f64 v[101:102], v[111:112], s[12:13], v[147:148]
	v_fma_f64 v[99:100], v[111:112], s[12:13], v[99:100]
	v_fma_f64 v[111:112], v[125:126], s[12:13], v[149:150]
	v_fma_f64 v[123:124], v[125:126], s[12:13], v[123:124]
	v_mad_u32_u24 v94, 0xc8, v113, 0
	v_fma_f64 v[125:126], v[127:128], s[12:13], v[151:152]
	v_fma_f64 v[105:106], v[127:128], s[12:13], v[105:106]
	;; [unrolled: 1-line block ×4, first 2 shown]
	v_mad_u32_u24 v113, 0xc8, v153, 0
	v_add3_u32 v93, v95, v93, v120
	v_lshlrev_b32_sdwa v95, v96, v167 dst_sel:DWORD dst_unused:UNUSED_PAD src0_sel:DWORD src1_sel:BYTE_0
	v_lshlrev_b32_sdwa v127, v96, v168 dst_sel:DWORD dst_unused:UNUSED_PAD src0_sel:DWORD src1_sel:BYTE_0
	v_and_b32_e32 v92, 0xff, v118
	v_add3_u32 v95, v94, v95, v120
	v_add3_u32 v94, v113, v127, v120
	ds_write2_b64 v93, v[109:110], v[137:138] offset1:5
	ds_write2_b64 v93, v[139:140], v[103:104] offset0:10 offset1:15
	ds_write_b64 v93, v[97:98] offset:160
	ds_write2_b64 v95, v[133:134], v[101:102] offset1:5
	ds_write2_b64 v95, v[111:112], v[123:124] offset0:10 offset1:15
	ds_write_b64 v95, v[99:100] offset:160
	;; [unrolled: 3-line block ×3, first 2 shown]
	s_and_saveexec_b32 s1, s0
	s_cbranch_execz .LBB0_22
; %bb.21:
	v_add_f64 v[0:1], v[0:1], v[2:3]
	v_mul_f64 v[97:98], v[30:31], s[4:5]
	v_mul_f64 v[99:100], v[24:25], s[4:5]
	;; [unrolled: 1-line block ×6, first 2 shown]
	v_add_f64 v[0:1], v[0:1], v[56:57]
	v_add_f64 v[88:89], v[97:98], v[88:89]
	v_add_f64 v[62:63], v[62:63], -v[99:100]
	v_add_f64 v[0:1], v[0:1], v[58:59]
	v_add_f64 v[24:25], v[88:89], -v[24:25]
	v_add_f64 v[30:31], v[62:63], -v[30:31]
	v_mul_lo_u16 v62, 0xcd, v92
	v_add_f64 v[0:1], v[0:1], v[60:61]
	v_add_f64 v[14:15], v[14:15], v[24:25]
	;; [unrolled: 1-line block ×3, first 2 shown]
	v_lshrrev_b16 v24, 10, v62
	v_lshlrev_b32_sdwa v25, v96, v91 dst_sel:DWORD dst_unused:UNUSED_PAD src0_sel:DWORD src1_sel:WORD_0
	v_and_b32_e32 v24, 0xffff, v24
	v_mad_u32_u24 v24, 0xc8, v24, 0
	v_add3_u32 v24, v24, v25, v120
	ds_write2_b64 v24, v[0:1], v[64:65] offset1:5
	ds_write2_b64 v24, v[66:67], v[14:15] offset0:10 offset1:15
	ds_write_b64 v24, v[12:13] offset:160
.LBB0_22:
	s_or_b32 exec_lo, exec_lo, s1
	v_add_f64 v[0:1], v[68:69], v[22:23]
	v_add_f64 v[12:13], v[70:71], v[16:17]
	;; [unrolled: 1-line block ×4, first 2 shown]
	v_add_f64 v[30:31], v[74:75], -v[80:81]
	v_add_f64 v[62:63], v[50:51], v[28:29]
	v_add_f64 v[80:81], v[34:35], v[20:21]
	;; [unrolled: 1-line block ×3, first 2 shown]
	v_add_f64 v[86:87], v[46:47], -v[86:87]
	v_add_f64 v[46:47], v[40:41], v[42:43]
	v_add_f64 v[100:101], v[36:37], v[54:55]
	v_add_f64 v[72:73], v[72:73], -v[76:77]
	v_add_f64 v[74:75], v[70:71], -v[68:69]
	;; [unrolled: 1-line block ×3, first 2 shown]
	v_add_f64 v[98:99], v[8:9], v[50:51]
	v_add_f64 v[78:79], v[82:83], -v[78:79]
	v_add_f64 v[82:83], v[50:51], -v[44:45]
	v_add_f64 v[106:107], v[10:11], v[38:39]
	v_add_f64 v[6:7], v[6:7], -v[48:49]
	v_add_f64 v[26:27], v[26:27], -v[84:85]
	;; [unrolled: 1-line block ×4, first 2 shown]
	v_fma_f64 v[0:1], v[0:1], -0.5, v[52:53]
	v_fma_f64 v[12:13], v[12:13], -0.5, v[52:53]
	v_add_f64 v[52:53], v[44:45], -v[50:51]
	v_fma_f64 v[14:15], v[14:15], -0.5, v[8:9]
	v_add_f64 v[50:51], v[56:57], -v[58:59]
	;; [unrolled: 2-line block ×3, first 2 shown]
	v_fma_f64 v[80:81], v[80:81], -0.5, v[10:11]
	v_fma_f64 v[10:11], v[96:97], -0.5, v[10:11]
	;; [unrolled: 1-line block ×3, first 2 shown]
	v_add_f64 v[24:25], v[24:25], v[68:69]
	v_fma_f64 v[46:47], v[100:101], -0.5, v[4:5]
	v_add_f64 v[70:71], v[68:69], -v[70:71]
	v_add_f64 v[88:89], v[22:23], -v[16:17]
	;; [unrolled: 1-line block ×7, first 2 shown]
	v_add_f64 v[44:45], v[98:99], v[44:45]
	v_add_f64 v[68:69], v[54:55], -v[42:43]
	v_add_f64 v[98:99], v[40:41], -v[36:37]
	v_fma_f64 v[56:57], v[30:31], s[6:7], v[0:1]
	v_fma_f64 v[0:1], v[30:31], s[4:5], v[0:1]
	;; [unrolled: 1-line block ×8, first 2 shown]
	v_add_f64 v[34:35], v[106:107], v[34:35]
	v_fma_f64 v[100:101], v[6:7], s[6:7], v[80:81]
	v_add_f64 v[106:107], v[42:43], -v[54:55]
	v_fma_f64 v[80:81], v[6:7], s[4:5], v[80:81]
	v_fma_f64 v[112:113], v[26:27], s[4:5], v[10:11]
	v_add_f64 v[74:75], v[74:75], v[76:77]
	v_fma_f64 v[10:11], v[26:27], s[6:7], v[10:11]
	v_fma_f64 v[76:77], v[48:49], s[6:7], v[38:39]
	v_add_f64 v[22:23], v[24:25], v[22:23]
	v_fma_f64 v[24:25], v[50:51], s[4:5], v[46:47]
	v_add_f64 v[70:71], v[70:71], v[88:89]
	v_add_f64 v[52:53], v[52:53], v[104:105]
	;; [unrolled: 1-line block ×3, first 2 shown]
	s_waitcnt lgkmcnt(0)
	v_fma_f64 v[56:57], v[72:73], s[14:15], v[56:57]
	v_fma_f64 v[0:1], v[72:73], s[10:11], v[0:1]
	;; [unrolled: 1-line block ×4, first 2 shown]
	v_add_f64 v[30:31], v[44:45], v[32:33]
	v_fma_f64 v[44:45], v[78:79], s[14:15], v[60:61]
	v_add_f64 v[60:61], v[82:83], v[102:103]
	v_fma_f64 v[14:15], v[78:79], s[10:11], v[14:15]
	v_fma_f64 v[72:73], v[86:87], s[14:15], v[96:97]
	v_fma_f64 v[8:9], v[86:87], s[10:11], v[8:9]
	v_add_f64 v[20:21], v[34:35], v[20:21]
	v_fma_f64 v[78:79], v[26:27], s[14:15], v[100:101]
	v_fma_f64 v[26:27], v[26:27], s[10:11], v[80:81]
	;; [unrolled: 4-line block ×3, first 2 shown]
	v_add_f64 v[32:33], v[2:3], v[68:69]
	v_add_f64 v[34:35], v[98:99], v[106:107]
	v_fma_f64 v[2:3], v[48:49], s[14:15], v[24:25]
	v_add_nc_u32_e32 v100, 0x400, v115
	v_add_nc_u32_e32 v102, 0x800, v115
	;; [unrolled: 1-line block ×4, first 2 shown]
	v_fma_f64 v[56:57], v[74:75], s[12:13], v[56:57]
	v_fma_f64 v[84:85], v[74:75], s[12:13], v[0:1]
	v_add_nc_u32_e32 v74, 0x1c00, v115
	v_add_f64 v[76:77], v[22:23], v[16:17]
	v_fma_f64 v[58:59], v[70:71], s[12:13], v[58:59]
	v_fma_f64 v[86:87], v[70:71], s[12:13], v[12:13]
	v_add_f64 v[88:89], v[30:31], v[28:29]
	v_fma_f64 v[44:45], v[60:61], s[12:13], v[44:45]
	v_fma_f64 v[60:61], v[60:61], s[12:13], v[14:15]
	;; [unrolled: 1-line block ×4, first 2 shown]
	v_add_f64 v[98:99], v[20:21], v[18:19]
	v_fma_f64 v[78:79], v[62:63], s[12:13], v[78:79]
	v_fma_f64 v[62:63], v[62:63], s[12:13], v[26:27]
	;; [unrolled: 1-line block ×6, first 2 shown]
	s_barrier
	buffer_gl0_inv
	ds_read2_b64 v[22:25], v115 offset0:75 offset1:150
	ds_read2_b64 v[6:9], v100 offset0:97 offset1:172
	ds_read2_b64 v[10:13], v102 offset0:119 offset1:194
	ds_read2_b64 v[0:3], v101 offset0:13 offset1:88
	ds_read2_b64 v[26:29], v101 offset0:163 offset1:238
	ds_read2_b64 v[18:21], v103 offset0:57 offset1:132
	ds_read2_b64 v[14:17], v74 offset0:79 offset1:154
	ds_read_b64 v[30:31], v119
	ds_read_b64 v[72:73], v115 offset:9000
	s_waitcnt lgkmcnt(0)
	s_barrier
	buffer_gl0_inv
	ds_write2_b64 v93, v[76:77], v[56:57] offset1:5
	ds_write2_b64 v93, v[58:59], v[86:87] offset0:10 offset1:15
	ds_write_b64 v93, v[84:85] offset:160
	ds_write2_b64 v95, v[88:89], v[44:45] offset1:5
	ds_write2_b64 v95, v[96:97], v[52:53] offset0:10 offset1:15
	ds_write_b64 v95, v[60:61] offset:160
	;; [unrolled: 3-line block ×3, first 2 shown]
	s_and_saveexec_b32 s1, s0
	s_cbranch_execz .LBB0_24
; %bb.23:
	v_add_f64 v[4:5], v[4:5], v[36:37]
	v_mul_f64 v[36:37], v[48:49], s[4:5]
	v_mul_f64 v[44:45], v[50:51], s[4:5]
	;; [unrolled: 1-line block ×6, first 2 shown]
	v_add_f64 v[4:5], v[4:5], v[40:41]
	v_add_f64 v[36:37], v[38:39], v[36:37]
	v_add_f64 v[38:39], v[46:47], -v[44:45]
	v_mul_lo_u16 v40, 0xcd, v92
	v_add_f64 v[4:5], v[4:5], v[42:43]
	v_add_f64 v[36:37], v[50:51], v[36:37]
	;; [unrolled: 1-line block ×6, first 2 shown]
	v_lshrrev_b16 v36, 10, v40
	v_mov_b32_e32 v37, 3
	v_and_b32_e32 v36, 0xffff, v36
	v_lshlrev_b32_sdwa v37, v37, v91 dst_sel:DWORD dst_unused:UNUSED_PAD src0_sel:DWORD src1_sel:WORD_0
	v_mad_u32_u24 v36, 0xc8, v36, 0
	v_add3_u32 v36, v36, v37, v120
	ds_write2_b64 v36, v[4:5], v[68:69] offset1:5
	ds_write2_b64 v36, v[70:71], v[34:35] offset0:10 offset1:15
	ds_write_b64 v36, v[32:33] offset:160
.LBB0_24:
	s_or_b32 exec_lo, exec_lo, s1
	v_mul_lo_u16 v4, v90, 41
	v_mov_b32_e32 v32, 15
	s_waitcnt lgkmcnt(0)
	s_barrier
	buffer_gl0_inv
	v_lshrrev_b16 v4, 10, v4
	s_mov_b32 s0, 0x667f3bcd
	s_mov_b32 s1, 0x3fe6a09e
	;; [unrolled: 1-line block ×4, first 2 shown]
	v_mul_lo_u16 v5, v4, 25
	s_mov_b32 s10, 0xcf328d46
	s_mov_b32 s11, 0xbfed906b
	;; [unrolled: 1-line block ×4, first 2 shown]
	v_sub_nc_u16 v5, v114, v5
	s_mov_b32 s12, 0xa6aea964
	s_mov_b32 s13, 0xbfd87de2
	;; [unrolled: 1-line block ×4, first 2 shown]
	v_mul_u32_u24_sdwa v32, v5, v32 dst_sel:DWORD dst_unused:UNUSED_PAD src0_sel:BYTE_0 src1_sel:DWORD
	v_and_b32_e32 v4, 0xffff, v4
	v_lshlrev_b32_e32 v36, 4, v32
	v_mad_u32_u24 v4, 0xc80, v4, 0
	s_clause 0xe
	global_load_dwordx4 v[52:55], v36, s[8:9] offset:320
	global_load_dwordx4 v[48:51], v36, s[8:9] offset:336
	;; [unrolled: 1-line block ×15, first 2 shown]
	ds_read2_b64 v[123:126], v115 offset0:75 offset1:150
	ds_read2_b64 v[127:130], v100 offset0:97 offset1:172
	;; [unrolled: 1-line block ×7, first 2 shown]
	ds_read_b64 v[112:113], v115 offset:9000
	ds_read_b64 v[74:75], v119
	s_waitcnt vmcnt(0) lgkmcnt(0)
	s_barrier
	buffer_gl0_inv
	v_mul_f64 v[147:148], v[123:124], v[54:55]
	v_mul_f64 v[149:150], v[125:126], v[50:51]
	;; [unrolled: 1-line block ×29, first 2 shown]
	v_fma_f64 v[22:23], v[22:23], v[52:53], -v[147:148]
	v_fma_f64 v[24:25], v[24:25], v[48:49], -v[149:150]
	v_fma_f64 v[135:136], v[135:136], v[56:57], v[42:43]
	v_fma_f64 v[137:138], v[137:138], v[60:61], v[157:158]
	v_fma_f64 v[6:7], v[6:7], v[44:45], -v[151:152]
	v_fma_f64 v[42:43], v[129:130], v[40:41], v[153:154]
	v_fma_f64 v[28:29], v[28:29], v[76:77], -v[159:160]
	v_fma_f64 v[129:130], v[2:3], v[32:33], -v[163:164]
	v_fma_f64 v[141:142], v[141:142], v[88:89], v[167:168]
	v_fma_f64 v[26:27], v[26:27], v[80:81], -v[161:162]
	v_fma_f64 v[145:146], v[145:146], v[84:85], v[165:166]
	v_fma_f64 v[143:144], v[143:144], v[92:93], v[169:170]
	;; [unrolled: 1-line block ×3, first 2 shown]
	v_fma_f64 v[18:19], v[18:19], v[104:105], -v[173:174]
	v_fma_f64 v[36:37], v[112:113], v[108:109], v[175:176]
	v_fma_f64 v[48:49], v[125:126], v[48:49], v[50:51]
	;; [unrolled: 1-line block ×3, first 2 shown]
	v_fma_f64 v[8:9], v[8:9], v[40:41], -v[155:156]
	v_fma_f64 v[20:21], v[20:21], v[88:89], -v[90:91]
	v_fma_f64 v[46:47], v[133:134], v[76:77], v[78:79]
	v_fma_f64 v[10:11], v[10:11], v[56:57], -v[58:59]
	v_fma_f64 v[50:51], v[0:1], v[96:97], -v[98:99]
	;; [unrolled: 1-line block ×3, first 2 shown]
	v_fma_f64 v[56:57], v[139:140], v[104:105], v[106:107]
	v_fma_f64 v[58:59], v[72:73], v[108:109], -v[110:111]
	v_fma_f64 v[52:53], v[123:124], v[52:53], v[54:55]
	v_fma_f64 v[12:13], v[12:13], v[60:61], -v[62:63]
	v_fma_f64 v[16:17], v[16:17], v[84:85], -v[86:87]
	v_fma_f64 v[54:55], v[131:132], v[80:81], v[82:83]
	v_add_f64 v[60:61], v[30:31], -v[129:130]
	v_add_f64 v[0:1], v[42:43], -v[141:142]
	v_add_f64 v[28:29], v[24:25], -v[28:29]
	v_add_f64 v[62:63], v[137:138], -v[145:146]
	v_add_f64 v[26:27], v[22:23], -v[26:27]
	v_add_f64 v[72:73], v[135:136], -v[143:144]
	v_add_f64 v[18:19], v[6:7], -v[18:19]
	v_add_f64 v[76:77], v[147:148], -v[36:37]
	v_add_nc_u32_e32 v104, 0x1400, v115
	v_add_nc_u32_e32 v106, 0x2000, v115
	v_add_f64 v[40:41], v[8:9], -v[20:21]
	v_add_f64 v[20:21], v[48:49], -v[46:47]
	;; [unrolled: 1-line block ×7, first 2 shown]
	v_fma_f64 v[30:31], v[30:31], 2.0, -v[60:61]
	v_add_f64 v[78:79], v[60:61], -v[0:1]
	v_fma_f64 v[24:25], v[24:25], 2.0, -v[28:29]
	v_add_f64 v[84:85], v[28:29], -v[62:63]
	;; [unrolled: 2-line block ×4, first 2 shown]
	v_fma_f64 v[8:9], v[8:9], 2.0, -v[40:41]
	v_fma_f64 v[36:37], v[48:49], 2.0, -v[20:21]
	;; [unrolled: 1-line block ×7, first 2 shown]
	v_add_f64 v[56:57], v[46:47], v[56:57]
	v_fma_f64 v[12:13], v[12:13], 2.0, -v[16:17]
	v_add_f64 v[16:17], v[20:21], v[16:17]
	v_add_f64 v[14:15], v[54:55], v[14:15]
	v_fma_f64 v[60:61], v[60:61], 2.0, -v[78:79]
	v_fma_f64 v[52:53], v[52:53], 2.0, -v[54:55]
	;; [unrolled: 1-line block ×6, first 2 shown]
	v_add_f64 v[8:9], v[30:31], -v[8:9]
	v_add_f64 v[58:59], v[36:37], -v[48:49]
	v_fma_f64 v[48:49], v[84:85], s[0:1], v[78:79]
	v_add_f64 v[10:11], v[22:23], -v[10:11]
	v_add_f64 v[86:87], v[6:7], -v[44:45]
	;; [unrolled: 1-line block ×3, first 2 shown]
	v_fma_f64 v[44:45], v[82:83], s[0:1], v[80:81]
	v_add_f64 v[72:73], v[24:25], -v[12:13]
	v_fma_f64 v[12:13], v[20:21], 2.0, -v[16:17]
	v_fma_f64 v[20:21], v[54:55], 2.0, -v[14:15]
	;; [unrolled: 1-line block ×3, first 2 shown]
	v_fma_f64 v[88:89], v[28:29], s[14:15], v[60:61]
	v_add_f64 v[92:93], v[52:53], -v[76:77]
	v_fma_f64 v[76:77], v[56:57], s[0:1], v[14:15]
	v_fma_f64 v[90:91], v[18:19], s[14:15], v[26:27]
	v_fma_f64 v[30:31], v[30:31], 2.0, -v[8:9]
	v_add_f64 v[94:95], v[8:9], -v[58:59]
	v_fma_f64 v[96:97], v[16:17], s[14:15], v[48:49]
	v_fma_f64 v[22:23], v[22:23], 2.0, -v[10:11]
	v_fma_f64 v[6:7], v[6:7], 2.0, -v[86:87]
	v_add_f64 v[107:108], v[10:11], -v[50:51]
	v_fma_f64 v[46:47], v[56:57], s[14:15], v[44:45]
	v_fma_f64 v[24:25], v[24:25], 2.0, -v[72:73]
	v_mul_f64 v[98:99], v[12:13], s[0:1]
	v_fma_f64 v[56:57], v[54:55], s[14:15], v[20:21]
	v_fma_f64 v[88:89], v[12:13], s[14:15], v[88:89]
	v_add_f64 v[109:110], v[92:93], v[86:87]
	v_fma_f64 v[44:45], v[54:55], s[14:15], v[90:91]
	v_fma_f64 v[90:91], v[62:63], 2.0, -v[50:51]
	v_fma_f64 v[62:63], v[82:83], s[0:1], v[76:77]
	v_fma_f64 v[54:55], v[52:53], 2.0, -v[92:93]
	v_fma_f64 v[8:9], v[8:9], 2.0, -v[94:95]
	;; [unrolled: 1-line block ×3, first 2 shown]
	v_add_f64 v[48:49], v[22:23], -v[6:7]
	v_fma_f64 v[6:7], v[10:11], 2.0, -v[107:108]
	v_fma_f64 v[52:53], v[80:81], 2.0, -v[46:47]
	v_add_f64 v[24:25], v[30:31], -v[24:25]
	v_fma_f64 v[76:77], v[18:19], s[0:1], v[56:57]
	v_fma_f64 v[10:11], v[60:61], 2.0, -v[88:89]
	v_fma_f64 v[18:19], v[92:93], 2.0, -v[109:110]
	v_fma_f64 v[50:51], v[26:27], 2.0, -v[44:45]
	v_fma_f64 v[26:27], v[46:47], s[6:7], v[96:97]
	v_fma_f64 v[80:81], v[14:15], 2.0, -v[62:63]
	v_fma_f64 v[14:15], v[107:108], s[0:1], v[94:95]
	v_add_f64 v[78:79], v[54:55], -v[90:91]
	v_fma_f64 v[92:93], v[44:45], s[4:5], v[88:89]
	v_fma_f64 v[22:23], v[22:23], 2.0, -v[48:49]
	v_fma_f64 v[60:61], v[6:7], s[14:15], v[8:9]
	v_fma_f64 v[90:91], v[52:53], s[12:13], v[86:87]
	v_fma_f64 v[30:31], v[30:31], 2.0, -v[24:25]
	v_fma_f64 v[82:83], v[20:21], 2.0, -v[76:77]
	v_fma_f64 v[20:21], v[50:51], s[10:11], v[10:11]
	v_fma_f64 v[56:57], v[62:63], s[12:13], v[26:27]
	;; [unrolled: 1-line block ×3, first 2 shown]
	v_add_f64 v[26:27], v[24:25], -v[78:79]
	v_fma_f64 v[123:124], v[76:77], s[10:11], v[92:93]
	v_mul_f64 v[92:93], v[28:29], s[0:1]
	v_fma_f64 v[60:61], v[18:19], s[14:15], v[60:61]
	v_fma_f64 v[111:112], v[80:81], s[10:11], v[90:91]
	v_add_f64 v[22:23], v[30:31], -v[22:23]
	v_mov_b32_e32 v90, 3
	v_lshlrev_b32_sdwa v5, v90, v5 dst_sel:DWORD dst_unused:UNUSED_PAD src0_sel:DWORD src1_sel:BYTE_0
	v_mul_f64 v[90:91], v[109:110], s[0:1]
	v_fma_f64 v[20:21], v[82:83], s[12:13], v[20:21]
	v_fma_f64 v[125:126], v[96:97], 2.0, -v[56:57]
	v_add3_u32 v105, v4, v5, v120
	v_fma_f64 v[4:5], v[94:95], 2.0, -v[14:15]
	v_fma_f64 v[24:25], v[24:25], 2.0, -v[26:27]
	;; [unrolled: 1-line block ×3, first 2 shown]
	v_mul_f64 v[94:95], v[84:85], s[0:1]
	v_add_nc_u32_e32 v120, 0x800, v105
	v_add_nc_u32_e32 v113, 0x400, v105
	v_mul_f64 v[96:97], v[16:17], s[0:1]
	v_mul_f64 v[84:85], v[6:7], s[0:1]
	v_fma_f64 v[8:9], v[8:9], 2.0, -v[60:61]
	v_fma_f64 v[127:128], v[86:87], 2.0, -v[111:112]
	;; [unrolled: 1-line block ×3, first 2 shown]
	v_mul_f64 v[88:89], v[18:19], s[0:1]
	v_mul_f64 v[86:87], v[107:108], s[0:1]
	v_cmp_gt_u32_e64 s0, 25, v114
	v_fma_f64 v[10:11], v[10:11], 2.0, -v[20:21]
	ds_write2_b64 v120, v[14:15], v[56:57] offset0:94 offset1:119
	ds_write2_b64 v105, v[4:5], v[125:126] offset0:150 offset1:175
	;; [unrolled: 1-line block ×7, first 2 shown]
	ds_write2_b64 v105, v[30:31], v[10:11] offset1:25
	s_waitcnt lgkmcnt(0)
	s_barrier
	buffer_gl0_inv
	ds_read_b64 v[60:61], v119
	ds_read2_b64 v[12:15], v102 offset0:144 offset1:219
	ds_read2_b64 v[16:19], v104 offset0:60 offset1:160
	;; [unrolled: 1-line block ×7, first 2 shown]
	s_and_saveexec_b32 s1, s0
	s_cbranch_execz .LBB0_26
; %bb.25:
	ds_read_b64 v[56:57], v115 offset:3000
	ds_read_b64 v[64:65], v115 offset:6200
	;; [unrolled: 1-line block ×3, first 2 shown]
.LBB0_26:
	s_or_b32 exec_lo, exec_lo, s1
	v_mul_f64 v[2:3], v[2:3], v[34:35]
	v_fma_f64 v[0:1], v[42:43], 2.0, -v[0:1]
	v_fma_f64 v[36:37], v[36:37], 2.0, -v[58:59]
	;; [unrolled: 1-line block ×3, first 2 shown]
	s_waitcnt lgkmcnt(0)
	s_barrier
	buffer_gl0_inv
	v_fma_f64 v[2:3], v[38:39], v[32:33], v[2:3]
	v_add_f64 v[2:3], v[74:75], -v[2:3]
	v_add_f64 v[32:33], v[2:3], v[40:41]
	v_fma_f64 v[34:35], v[74:75], 2.0, -v[2:3]
	v_fma_f64 v[2:3], v[2:3], 2.0, -v[32:33]
	v_add_f64 v[0:1], v[34:35], -v[0:1]
	v_add_f64 v[38:39], v[32:33], v[96:97]
	v_add_f64 v[40:41], v[2:3], -v[98:99]
	v_add_f64 v[42:43], v[0:1], v[72:73]
	v_add_f64 v[38:39], v[94:95], v[38:39]
	v_fma_f64 v[34:35], v[34:35], 2.0, -v[0:1]
	v_add_f64 v[40:41], v[92:93], v[40:41]
	v_fma_f64 v[0:1], v[0:1], 2.0, -v[42:43]
	v_fma_f64 v[32:33], v[32:33], 2.0, -v[38:39]
	v_add_f64 v[36:37], v[34:35], -v[36:37]
	v_add_f64 v[58:59], v[42:43], v[90:91]
	v_fma_f64 v[62:63], v[62:63], s[6:7], v[38:39]
	v_fma_f64 v[2:3], v[2:3], 2.0, -v[40:41]
	v_add_f64 v[72:73], v[0:1], -v[88:89]
	v_fma_f64 v[74:75], v[80:81], s[12:13], v[32:33]
	v_fma_f64 v[76:77], v[76:77], s[4:5], v[40:41]
	v_fma_f64 v[34:35], v[34:35], 2.0, -v[36:37]
	v_add_f64 v[80:81], v[86:87], v[58:59]
	v_fma_f64 v[58:59], v[46:47], s[4:5], v[62:63]
	v_add_f64 v[46:47], v[36:37], v[48:49]
	v_add_nc_u32_e32 v63, 0x800, v105
	v_add_nc_u32_e32 v62, 0x400, v105
	v_fma_f64 v[78:79], v[82:83], s[10:11], v[2:3]
	v_add_f64 v[48:49], v[84:85], v[72:73]
	v_fma_f64 v[52:53], v[52:53], s[6:7], v[74:75]
	v_fma_f64 v[44:45], v[44:45], s[6:7], v[76:77]
	v_add_f64 v[54:55], v[34:35], -v[54:55]
	v_fma_f64 v[42:43], v[42:43], 2.0, -v[80:81]
	v_fma_f64 v[38:39], v[38:39], 2.0, -v[58:59]
	;; [unrolled: 1-line block ×3, first 2 shown]
	v_add_nc_u32_e32 v74, 0x800, v115
	v_add_nc_u32_e32 v75, 0x1800, v115
	;; [unrolled: 1-line block ×4, first 2 shown]
	v_fma_f64 v[50:51], v[50:51], s[4:5], v[78:79]
	v_fma_f64 v[0:1], v[0:1], 2.0, -v[48:49]
	v_fma_f64 v[32:33], v[32:33], 2.0, -v[52:53]
	;; [unrolled: 1-line block ×5, first 2 shown]
	ds_write2_b64 v63, v[80:81], v[58:59] offset0:94 offset1:119
	ds_write2_b64 v105, v[42:43], v[38:39] offset0:150 offset1:175
	;; [unrolled: 1-line block ×7, first 2 shown]
	ds_write2_b64 v105, v[34:35], v[2:3] offset1:25
	s_waitcnt lgkmcnt(0)
	s_barrier
	buffer_gl0_inv
	ds_read_b64 v[72:73], v119
	ds_read2_b64 v[36:39], v74 offset0:144 offset1:219
	ds_read2_b64 v[40:43], v104 offset0:60 offset1:160
	;; [unrolled: 1-line block ×7, first 2 shown]
	s_and_saveexec_b32 s1, s0
	s_cbranch_execz .LBB0_28
; %bb.27:
	ds_read_b64 v[58:59], v115 offset:3000
	ds_read_b64 v[68:69], v115 offset:6200
	;; [unrolled: 1-line block ×3, first 2 shown]
.LBB0_28:
	s_or_b32 exec_lo, exec_lo, s1
	s_and_saveexec_b32 s1, vcc_lo
	s_cbranch_execz .LBB0_31
; %bb.29:
	v_add_nc_u32_e32 v126, 0x12c, v114
	v_mov_b32_e32 v63, 0
	s_mov_b32 s4, 0xe8584caa
	s_mov_b32 s5, 0x3febb67a
	;; [unrolled: 1-line block ×3, first 2 shown]
	v_lshlrev_b32_e32 v62, 1, v126
	v_mov_b32_e32 v115, v63
	s_mov_b32 s6, s4
	v_lshlrev_b64 v[74:75], 4, v[62:63]
	v_lshlrev_b32_e32 v62, 1, v118
	v_lshlrev_b64 v[76:77], 4, v[62:63]
	v_add_co_u32 v78, vcc_lo, s8, v74
	v_add_co_ci_u32_e32 v79, vcc_lo, s9, v75, vcc_lo
	v_lshlrev_b32_e32 v62, 1, v121
	v_add_co_u32 v82, vcc_lo, 0x18b0, v78
	v_add_co_ci_u32_e32 v83, vcc_lo, 0, v79, vcc_lo
	v_add_co_u32 v78, vcc_lo, 0x1800, v78
	v_add_co_ci_u32_e32 v79, vcc_lo, 0, v79, vcc_lo
	v_lshlrev_b64 v[74:75], 4, v[62:63]
	v_add_co_u32 v62, vcc_lo, s8, v76
	v_add_co_ci_u32_e32 v86, vcc_lo, s9, v77, vcc_lo
	s_clause 0x1
	global_load_dwordx4 v[78:81], v[78:79], off offset:176
	global_load_dwordx4 v[82:85], v[82:83], off offset:16
	v_add_co_u32 v76, vcc_lo, 0x18b0, v62
	v_add_co_ci_u32_e32 v77, vcc_lo, 0, v86, vcc_lo
	v_add_co_u32 v87, vcc_lo, s8, v74
	v_add_co_ci_u32_e32 v88, vcc_lo, s9, v75, vcc_lo
	v_add_co_u32 v74, vcc_lo, 0x1800, v62
	v_lshlrev_b32_e32 v62, 1, v122
	v_add_co_ci_u32_e32 v75, vcc_lo, 0, v86, vcc_lo
	v_add_co_u32 v94, vcc_lo, 0x1800, v87
	v_lshlrev_b64 v[102:103], 4, v[62:63]
	v_add_co_ci_u32_e32 v95, vcc_lo, 0, v88, vcc_lo
	v_add_co_u32 v98, vcc_lo, 0x18b0, v87
	v_add_co_ci_u32_e32 v99, vcc_lo, 0, v88, vcc_lo
	v_add_co_u32 v102, vcc_lo, s8, v102
	v_lshlrev_b32_e32 v62, 1, v114
	v_add_co_ci_u32_e32 v103, vcc_lo, s9, v103, vcc_lo
	s_clause 0x3
	global_load_dwordx4 v[86:89], v[74:75], off offset:176
	global_load_dwordx4 v[90:93], v[76:77], off offset:16
	;; [unrolled: 1-line block ×4, first 2 shown]
	v_add_co_u32 v74, vcc_lo, 0x18b0, v102
	v_lshlrev_b64 v[76:77], 4, v[62:63]
	v_add_co_ci_u32_e32 v75, vcc_lo, 0, v103, vcc_lo
	v_add_co_u32 v102, vcc_lo, 0x1800, v102
	v_add_co_ci_u32_e32 v103, vcc_lo, 0, v103, vcc_lo
	v_add_co_u32 v62, vcc_lo, s8, v76
	v_add_co_ci_u32_e32 v106, vcc_lo, s9, v77, vcc_lo
	global_load_dwordx4 v[102:105], v[102:103], off offset:176
	v_add_co_u32 v76, vcc_lo, 0x1800, v62
	v_add_co_ci_u32_e32 v77, vcc_lo, 0, v106, vcc_lo
	v_add_co_u32 v119, vcc_lo, 0x18b0, v62
	v_add_co_ci_u32_e32 v120, vcc_lo, 0, v106, vcc_lo
	s_clause 0x2
	global_load_dwordx4 v[106:109], v[74:75], off offset:16
	global_load_dwordx4 v[110:113], v[76:77], off offset:176
	;; [unrolled: 1-line block ×3, first 2 shown]
	v_mul_hi_u32 v62, 0x51eb851f, v121
	v_lshlrev_b64 v[74:75], 4, v[114:115]
	v_mul_hi_u32 v76, 0x51eb851f, v118
	v_add_co_u32 v156, vcc_lo, s2, v116
	v_add_co_ci_u32_e32 v157, vcc_lo, s3, v117, vcc_lo
	v_mul_hi_u32 v77, 0x51eb851f, v126
	v_lshrrev_b32_e32 v62, 7, v62
	v_add_co_u32 v74, vcc_lo, v156, v74
	v_add_co_ci_u32_e32 v75, vcc_lo, v157, v75, vcc_lo
	v_mad_u32_u24 v62, 0x320, v62, v121
	v_lshrrev_b32_e32 v76, 7, v76
	v_add_co_u32 v115, vcc_lo, 0x1800, v74
	v_add_co_ci_u32_e32 v116, vcc_lo, 0, v75, vcc_lo
	v_lshlrev_b64 v[119:120], 4, v[62:63]
	v_mad_u32_u24 v62, 0x320, v76, v118
	v_add_co_u32 v76, vcc_lo, 0x3000, v74
	v_lshrrev_b32_e32 v127, 7, v77
	v_add_co_ci_u32_e32 v77, vcc_lo, 0, v75, vcc_lo
	v_add_co_u32 v119, vcc_lo, v156, v119
	v_lshlrev_b64 v[117:118], 4, v[62:63]
	v_add_co_ci_u32_e32 v120, vcc_lo, v157, v120, vcc_lo
	v_add_co_u32 v128, vcc_lo, 0x1800, v119
	v_mad_u32_u24 v62, 0x320, v127, v126
	v_add_co_ci_u32_e32 v129, vcc_lo, 0, v120, vcc_lo
	v_add_co_u32 v117, vcc_lo, v156, v117
	v_add_co_ci_u32_e32 v118, vcc_lo, v157, v118, vcc_lo
	v_add_co_u32 v130, vcc_lo, 0x3000, v119
	v_add_co_ci_u32_e32 v131, vcc_lo, 0, v120, vcc_lo
	v_lshlrev_b64 v[126:127], 4, v[62:63]
	v_add_co_u32 v132, vcc_lo, 0x1800, v117
	v_add_co_ci_u32_e32 v133, vcc_lo, 0, v118, vcc_lo
	v_add_co_u32 v154, vcc_lo, 0x3000, v117
	v_add_co_ci_u32_e32 v155, vcc_lo, 0, v118, vcc_lo
	s_waitcnt vmcnt(9) lgkmcnt(5)
	v_mul_f64 v[134:135], v[40:41], v[80:81]
	s_waitcnt vmcnt(8) lgkmcnt(0)
	v_mul_f64 v[136:137], v[54:55], v[84:85]
	v_mul_f64 v[80:81], v[16:17], v[80:81]
	;; [unrolled: 1-line block ×3, first 2 shown]
	v_fma_f64 v[16:17], v[16:17], v[78:79], -v[134:135]
	v_fma_f64 v[30:31], v[30:31], v[82:83], -v[136:137]
	v_fma_f64 v[40:41], v[40:41], v[78:79], v[80:81]
	v_fma_f64 v[54:55], v[54:55], v[82:83], v[84:85]
	s_waitcnt vmcnt(7)
	v_mul_f64 v[138:139], v[50:51], v[88:89]
	s_waitcnt vmcnt(6)
	v_mul_f64 v[140:141], v[52:53], v[92:93]
	v_mul_f64 v[88:89], v[26:27], v[88:89]
	;; [unrolled: 1-line block ×3, first 2 shown]
	s_waitcnt vmcnt(5)
	v_mul_f64 v[142:143], v[48:49], v[96:97]
	s_waitcnt vmcnt(4)
	v_mul_f64 v[144:145], v[46:47], v[100:101]
	v_mul_f64 v[96:97], v[24:25], v[96:97]
	;; [unrolled: 1-line block ×3, first 2 shown]
	v_add_co_u32 v82, vcc_lo, v156, v126
	v_add_co_ci_u32_e32 v83, vcc_lo, v157, v127, vcc_lo
	s_waitcnt vmcnt(3)
	v_mul_f64 v[146:147], v[38:39], v[104:105]
	v_mul_f64 v[104:105], v[14:15], v[104:105]
	v_add_f64 v[80:81], v[16:17], -v[30:31]
	v_add_f64 v[84:85], v[34:35], v[40:41]
	v_fma_f64 v[26:27], v[26:27], v[86:87], -v[138:139]
	v_fma_f64 v[28:29], v[28:29], v[90:91], -v[140:141]
	v_fma_f64 v[50:51], v[50:51], v[86:87], v[88:89]
	s_waitcnt vmcnt(2)
	v_mul_f64 v[148:149], v[20:21], v[108:109]
	v_mul_f64 v[108:109], v[44:45], v[108:109]
	s_waitcnt vmcnt(1)
	v_mul_f64 v[150:151], v[36:37], v[112:113]
	v_mul_f64 v[112:113], v[12:13], v[112:113]
	;; [unrolled: 3-line block ×3, first 2 shown]
	v_fma_f64 v[52:53], v[52:53], v[90:91], v[92:93]
	v_fma_f64 v[48:49], v[48:49], v[94:95], v[96:97]
	;; [unrolled: 1-line block ×3, first 2 shown]
	v_fma_f64 v[24:25], v[24:25], v[94:95], -v[142:143]
	v_add_f64 v[88:89], v[40:41], -v[54:55]
	v_add_f64 v[86:87], v[16:17], v[30:31]
	v_add_f64 v[16:17], v[10:11], v[16:17]
	v_fma_f64 v[14:15], v[14:15], v[102:103], -v[146:147]
	v_fma_f64 v[38:39], v[38:39], v[102:103], v[104:105]
	v_add_f64 v[90:91], v[26:27], -v[28:29]
	v_add_f64 v[92:93], v[32:33], v[50:51]
	v_fma_f64 v[44:45], v[44:45], v[106:107], v[148:149]
	v_fma_f64 v[20:21], v[20:21], v[106:107], -v[108:109]
	v_fma_f64 v[12:13], v[12:13], v[110:111], -v[150:151]
	v_fma_f64 v[36:37], v[36:37], v[110:111], v[112:113]
	v_fma_f64 v[42:43], v[42:43], v[122:123], v[152:153]
	v_fma_f64 v[78:79], v[18:19], v[122:123], -v[124:125]
	v_fma_f64 v[18:19], v[22:23], v[98:99], -v[144:145]
	v_add_f64 v[22:23], v[40:41], v[54:55]
	v_add_f64 v[40:41], v[50:51], v[52:53]
	;; [unrolled: 1-line block ×3, first 2 shown]
	v_add_f64 v[102:103], v[50:51], -v[52:53]
	v_add_f64 v[98:99], v[26:27], v[28:29]
	v_add_f64 v[108:109], v[2:3], v[48:49]
	v_add_f64 v[112:113], v[48:49], -v[46:47]
	v_add_f64 v[26:27], v[8:9], v[26:27]
	v_add_f64 v[121:122], v[0:1], v[38:39]
	v_add_f64 v[96:97], v[38:39], v[44:45]
	v_add_f64 v[100:101], v[14:15], v[20:21]
	v_add_f64 v[123:124], v[38:39], -v[44:45]
	v_add_f64 v[38:39], v[4:5], v[14:15]
	v_add_f64 v[50:51], v[36:37], v[42:43]
	;; [unrolled: 5-line block ×3, first 2 shown]
	v_add_f64 v[134:135], v[60:61], v[12:13]
	v_add_f64 v[48:49], v[14:15], -v[20:21]
	v_fma_f64 v[138:139], v[40:41], -0.5, v[32:33]
	v_add_f64 v[136:137], v[12:13], -v[78:79]
	v_fma_f64 v[32:33], v[94:95], -0.5, v[2:3]
	v_add_f64 v[94:95], v[36:37], -v[42:43]
	v_add_f64 v[2:3], v[84:85], v[54:55]
	v_fma_f64 v[34:35], v[22:23], -0.5, v[34:35]
	v_fma_f64 v[84:85], v[98:99], -0.5, v[8:9]
	v_add_f64 v[14:15], v[121:122], v[44:45]
	v_add_f64 v[8:9], v[26:27], v[28:29]
	v_fma_f64 v[40:41], v[96:97], -0.5, v[0:1]
	v_fma_f64 v[96:97], v[100:101], -0.5, v[4:5]
	v_add_f64 v[0:1], v[16:17], v[30:31]
	v_add_f64 v[12:13], v[38:39], v[20:21]
	v_fma_f64 v[50:51], v[50:51], -0.5, v[72:73]
	v_fma_f64 v[54:55], v[104:105], -0.5, v[60:61]
	;; [unrolled: 1-line block ×4, first 2 shown]
	v_add_f64 v[4:5], v[24:25], v[18:19]
	v_add_f64 v[18:19], v[125:126], v[42:43]
	;; [unrolled: 1-line block ×5, first 2 shown]
	v_fma_f64 v[30:31], v[90:91], s[4:5], v[138:139]
	v_fma_f64 v[22:23], v[80:81], s[4:5], v[34:35]
	;; [unrolled: 1-line block ×20, first 2 shown]
	v_add_co_u32 v60, vcc_lo, 0x1800, v82
	v_add_co_ci_u32_e32 v61, vcc_lo, 0, v83, vcc_lo
	v_add_co_u32 v72, vcc_lo, 0x3000, v82
	v_add_co_ci_u32_e32 v73, vcc_lo, 0, v83, vcc_lo
	global_store_dwordx4 v[74:75], v[12:15], off offset:1200
	global_store_dwordx4 v[74:75], v[16:19], off
	global_store_dwordx4 v[115:116], v[40:43], off offset:1456
	global_store_dwordx4 v[76:77], v[36:39], off offset:1712
	;; [unrolled: 1-line block ×4, first 2 shown]
	global_store_dwordx4 v[119:120], v[4:7], off
	global_store_dwordx4 v[128:129], v[52:55], off offset:256
	global_store_dwordx4 v[130:131], v[32:35], off offset:512
	global_store_dwordx4 v[117:118], v[8:11], off
	global_store_dwordx4 v[132:133], v[78:81], off offset:256
	global_store_dwordx4 v[154:155], v[28:31], off offset:512
	;; [unrolled: 3-line block ×3, first 2 shown]
	s_and_b32 exec_lo, exec_lo, s0
	s_cbranch_execz .LBB0_31
; %bb.30:
	v_mov_b32_e32 v0, 0x177
	v_cndmask_b32_e64 v0, 0xffffffe7, v0, s0
	v_add_lshl_u32 v62, v114, v0, 1
	v_lshlrev_b64 v[0:1], 4, v[62:63]
	v_add_co_u32 v2, vcc_lo, s8, v0
	v_add_co_ci_u32_e32 v3, vcc_lo, s9, v1, vcc_lo
	v_add_co_u32 v0, vcc_lo, 0x1800, v2
	v_add_co_ci_u32_e32 v1, vcc_lo, 0, v3, vcc_lo
	;; [unrolled: 2-line block ×3, first 2 shown]
	s_clause 0x1
	global_load_dwordx4 v[0:3], v[0:1], off offset:176
	global_load_dwordx4 v[4:7], v[4:5], off offset:16
	s_waitcnt vmcnt(1)
	v_mul_f64 v[8:9], v[68:69], v[2:3]
	s_waitcnt vmcnt(0)
	v_mul_f64 v[10:11], v[70:71], v[6:7]
	v_mul_f64 v[2:3], v[64:65], v[2:3]
	;; [unrolled: 1-line block ×3, first 2 shown]
	v_fma_f64 v[8:9], v[64:65], v[0:1], -v[8:9]
	v_fma_f64 v[10:11], v[66:67], v[4:5], -v[10:11]
	v_fma_f64 v[0:1], v[68:69], v[0:1], v[2:3]
	v_fma_f64 v[2:3], v[70:71], v[4:5], v[6:7]
	v_add_f64 v[12:13], v[56:57], v[8:9]
	v_add_f64 v[4:5], v[8:9], v[10:11]
	;; [unrolled: 1-line block ×4, first 2 shown]
	v_add_f64 v[14:15], v[0:1], -v[2:3]
	v_add_f64 v[20:21], v[8:9], -v[10:11]
	v_add_f64 v[0:1], v[12:13], v[10:11]
	v_fma_f64 v[18:19], v[4:5], -0.5, v[56:57]
	v_add_f64 v[2:3], v[16:17], v[2:3]
	v_fma_f64 v[22:23], v[6:7], -0.5, v[58:59]
	v_add_co_u32 v12, vcc_lo, 0x1000, v74
	v_add_co_ci_u32_e32 v13, vcc_lo, 0, v75, vcc_lo
	v_fma_f64 v[4:5], v[14:15], s[4:5], v[18:19]
	v_fma_f64 v[8:9], v[14:15], s[6:7], v[18:19]
	;; [unrolled: 1-line block ×4, first 2 shown]
	v_add_co_u32 v14, vcc_lo, 0x4800, v74
	v_add_co_ci_u32_e32 v15, vcc_lo, 0, v75, vcc_lo
	global_store_dwordx4 v[12:13], v[0:3], off offset:1904
	global_store_dwordx4 v[76:77], v[4:7], off offset:112
	;; [unrolled: 1-line block ×3, first 2 shown]
.LBB0_31:
	s_endpgm
	.section	.rodata,"a",@progbits
	.p2align	6, 0x0
	.amdhsa_kernel fft_rtc_fwd_len1200_factors_5_5_16_3_wgs_225_tpt_75_halfLds_dp_ip_CI_unitstride_sbrr_dirReg
		.amdhsa_group_segment_fixed_size 0
		.amdhsa_private_segment_fixed_size 0
		.amdhsa_kernarg_size 88
		.amdhsa_user_sgpr_count 6
		.amdhsa_user_sgpr_private_segment_buffer 1
		.amdhsa_user_sgpr_dispatch_ptr 0
		.amdhsa_user_sgpr_queue_ptr 0
		.amdhsa_user_sgpr_kernarg_segment_ptr 1
		.amdhsa_user_sgpr_dispatch_id 0
		.amdhsa_user_sgpr_flat_scratch_init 0
		.amdhsa_user_sgpr_private_segment_size 0
		.amdhsa_wavefront_size32 1
		.amdhsa_uses_dynamic_stack 0
		.amdhsa_system_sgpr_private_segment_wavefront_offset 0
		.amdhsa_system_sgpr_workgroup_id_x 1
		.amdhsa_system_sgpr_workgroup_id_y 0
		.amdhsa_system_sgpr_workgroup_id_z 0
		.amdhsa_system_sgpr_workgroup_info 0
		.amdhsa_system_vgpr_workitem_id 0
		.amdhsa_next_free_vgpr 177
		.amdhsa_next_free_sgpr 21
		.amdhsa_reserve_vcc 1
		.amdhsa_reserve_flat_scratch 0
		.amdhsa_float_round_mode_32 0
		.amdhsa_float_round_mode_16_64 0
		.amdhsa_float_denorm_mode_32 3
		.amdhsa_float_denorm_mode_16_64 3
		.amdhsa_dx10_clamp 1
		.amdhsa_ieee_mode 1
		.amdhsa_fp16_overflow 0
		.amdhsa_workgroup_processor_mode 1
		.amdhsa_memory_ordered 1
		.amdhsa_forward_progress 0
		.amdhsa_shared_vgpr_count 0
		.amdhsa_exception_fp_ieee_invalid_op 0
		.amdhsa_exception_fp_denorm_src 0
		.amdhsa_exception_fp_ieee_div_zero 0
		.amdhsa_exception_fp_ieee_overflow 0
		.amdhsa_exception_fp_ieee_underflow 0
		.amdhsa_exception_fp_ieee_inexact 0
		.amdhsa_exception_int_div_zero 0
	.end_amdhsa_kernel
	.text
.Lfunc_end0:
	.size	fft_rtc_fwd_len1200_factors_5_5_16_3_wgs_225_tpt_75_halfLds_dp_ip_CI_unitstride_sbrr_dirReg, .Lfunc_end0-fft_rtc_fwd_len1200_factors_5_5_16_3_wgs_225_tpt_75_halfLds_dp_ip_CI_unitstride_sbrr_dirReg
                                        ; -- End function
	.section	.AMDGPU.csdata,"",@progbits
; Kernel info:
; codeLenInByte = 12412
; NumSgprs: 23
; NumVgprs: 177
; ScratchSize: 0
; MemoryBound: 1
; FloatMode: 240
; IeeeMode: 1
; LDSByteSize: 0 bytes/workgroup (compile time only)
; SGPRBlocks: 2
; VGPRBlocks: 22
; NumSGPRsForWavesPerEU: 23
; NumVGPRsForWavesPerEU: 177
; Occupancy: 5
; WaveLimiterHint : 1
; COMPUTE_PGM_RSRC2:SCRATCH_EN: 0
; COMPUTE_PGM_RSRC2:USER_SGPR: 6
; COMPUTE_PGM_RSRC2:TRAP_HANDLER: 0
; COMPUTE_PGM_RSRC2:TGID_X_EN: 1
; COMPUTE_PGM_RSRC2:TGID_Y_EN: 0
; COMPUTE_PGM_RSRC2:TGID_Z_EN: 0
; COMPUTE_PGM_RSRC2:TIDIG_COMP_CNT: 0
	.text
	.p2alignl 6, 3214868480
	.fill 48, 4, 3214868480
	.type	__hip_cuid_488c2a69234f6138,@object ; @__hip_cuid_488c2a69234f6138
	.section	.bss,"aw",@nobits
	.globl	__hip_cuid_488c2a69234f6138
__hip_cuid_488c2a69234f6138:
	.byte	0                               ; 0x0
	.size	__hip_cuid_488c2a69234f6138, 1

	.ident	"AMD clang version 19.0.0git (https://github.com/RadeonOpenCompute/llvm-project roc-6.4.0 25133 c7fe45cf4b819c5991fe208aaa96edf142730f1d)"
	.section	".note.GNU-stack","",@progbits
	.addrsig
	.addrsig_sym __hip_cuid_488c2a69234f6138
	.amdgpu_metadata
---
amdhsa.kernels:
  - .args:
      - .actual_access:  read_only
        .address_space:  global
        .offset:         0
        .size:           8
        .value_kind:     global_buffer
      - .offset:         8
        .size:           8
        .value_kind:     by_value
      - .actual_access:  read_only
        .address_space:  global
        .offset:         16
        .size:           8
        .value_kind:     global_buffer
      - .actual_access:  read_only
        .address_space:  global
        .offset:         24
        .size:           8
        .value_kind:     global_buffer
      - .offset:         32
        .size:           8
        .value_kind:     by_value
      - .actual_access:  read_only
        .address_space:  global
        .offset:         40
        .size:           8
        .value_kind:     global_buffer
      - .actual_access:  read_only
        .address_space:  global
        .offset:         48
        .size:           8
        .value_kind:     global_buffer
      - .offset:         56
        .size:           4
        .value_kind:     by_value
      - .actual_access:  read_only
        .address_space:  global
        .offset:         64
        .size:           8
        .value_kind:     global_buffer
      - .actual_access:  read_only
        .address_space:  global
        .offset:         72
        .size:           8
        .value_kind:     global_buffer
      - .address_space:  global
        .offset:         80
        .size:           8
        .value_kind:     global_buffer
    .group_segment_fixed_size: 0
    .kernarg_segment_align: 8
    .kernarg_segment_size: 88
    .language:       OpenCL C
    .language_version:
      - 2
      - 0
    .max_flat_workgroup_size: 225
    .name:           fft_rtc_fwd_len1200_factors_5_5_16_3_wgs_225_tpt_75_halfLds_dp_ip_CI_unitstride_sbrr_dirReg
    .private_segment_fixed_size: 0
    .sgpr_count:     23
    .sgpr_spill_count: 0
    .symbol:         fft_rtc_fwd_len1200_factors_5_5_16_3_wgs_225_tpt_75_halfLds_dp_ip_CI_unitstride_sbrr_dirReg.kd
    .uniform_work_group_size: 1
    .uses_dynamic_stack: false
    .vgpr_count:     177
    .vgpr_spill_count: 0
    .wavefront_size: 32
    .workgroup_processor_mode: 1
amdhsa.target:   amdgcn-amd-amdhsa--gfx1030
amdhsa.version:
  - 1
  - 2
...

	.end_amdgpu_metadata
